;; amdgpu-corpus repo=ROCm/rocFFT kind=compiled arch=gfx950 opt=O3
	.text
	.amdgcn_target "amdgcn-amd-amdhsa--gfx950"
	.amdhsa_code_object_version 6
	.protected	fft_rtc_fwd_len1428_factors_17_2_7_6_wgs_119_tpt_119_halfLds_dp_ip_CI_unitstride_sbrr_R2C_dirReg ; -- Begin function fft_rtc_fwd_len1428_factors_17_2_7_6_wgs_119_tpt_119_halfLds_dp_ip_CI_unitstride_sbrr_R2C_dirReg
	.globl	fft_rtc_fwd_len1428_factors_17_2_7_6_wgs_119_tpt_119_halfLds_dp_ip_CI_unitstride_sbrr_R2C_dirReg
	.p2align	8
	.type	fft_rtc_fwd_len1428_factors_17_2_7_6_wgs_119_tpt_119_halfLds_dp_ip_CI_unitstride_sbrr_R2C_dirReg,@function
fft_rtc_fwd_len1428_factors_17_2_7_6_wgs_119_tpt_119_halfLds_dp_ip_CI_unitstride_sbrr_R2C_dirReg: ; @fft_rtc_fwd_len1428_factors_17_2_7_6_wgs_119_tpt_119_halfLds_dp_ip_CI_unitstride_sbrr_R2C_dirReg
; %bb.0:
	s_load_dwordx2 s[8:9], s[0:1], 0x50
	s_load_dwordx4 s[4:7], s[0:1], 0x0
	s_load_dwordx2 s[10:11], s[0:1], 0x18
	v_mul_u32_u24_e32 v1, 0x227, v0
	v_add_u32_sdwa v6, s2, v1 dst_sel:DWORD dst_unused:UNUSED_PAD src0_sel:DWORD src1_sel:WORD_1
	v_mov_b32_e32 v4, 0
	s_waitcnt lgkmcnt(0)
	v_cmp_lt_u64_e64 s[2:3], s[6:7], 2
	v_mov_b32_e32 v7, v4
	s_and_b64 vcc, exec, s[2:3]
	v_mov_b64_e32 v[2:3], 0
	s_cbranch_vccnz .LBB0_8
; %bb.1:
	s_load_dwordx2 s[2:3], s[0:1], 0x10
	s_add_u32 s12, s10, 8
	s_addc_u32 s13, s11, 0
	s_mov_b64 s[14:15], 1
	v_mov_b64_e32 v[2:3], 0
	s_waitcnt lgkmcnt(0)
	s_add_u32 s16, s2, 8
	s_addc_u32 s17, s3, 0
.LBB0_2:                                ; =>This Inner Loop Header: Depth=1
	s_load_dwordx2 s[18:19], s[16:17], 0x0
                                        ; implicit-def: $vgpr8_vgpr9
	s_waitcnt lgkmcnt(0)
	v_or_b32_e32 v5, s19, v7
	v_cmp_ne_u64_e32 vcc, 0, v[4:5]
	s_and_saveexec_b64 s[2:3], vcc
	s_xor_b64 s[20:21], exec, s[2:3]
	s_cbranch_execz .LBB0_4
; %bb.3:                                ;   in Loop: Header=BB0_2 Depth=1
	v_cvt_f32_u32_e32 v1, s18
	v_cvt_f32_u32_e32 v5, s19
	s_sub_u32 s2, 0, s18
	s_subb_u32 s3, 0, s19
	v_fmac_f32_e32 v1, 0x4f800000, v5
	v_rcp_f32_e32 v1, v1
	s_nop 0
	v_mul_f32_e32 v1, 0x5f7ffffc, v1
	v_mul_f32_e32 v5, 0x2f800000, v1
	v_trunc_f32_e32 v5, v5
	v_fmac_f32_e32 v1, 0xcf800000, v5
	v_cvt_u32_f32_e32 v5, v5
	v_cvt_u32_f32_e32 v1, v1
	v_mul_lo_u32 v8, s2, v5
	v_mul_hi_u32 v10, s2, v1
	v_mul_lo_u32 v9, s3, v1
	v_add_u32_e32 v10, v10, v8
	v_mul_lo_u32 v12, s2, v1
	v_add_u32_e32 v13, v10, v9
	v_mul_hi_u32 v8, v1, v12
	v_mul_hi_u32 v11, v1, v13
	v_mul_lo_u32 v10, v1, v13
	v_mov_b32_e32 v9, v4
	v_lshl_add_u64 v[8:9], v[8:9], 0, v[10:11]
	v_mul_hi_u32 v11, v5, v12
	v_mul_lo_u32 v12, v5, v12
	v_add_co_u32_e32 v8, vcc, v8, v12
	v_mul_hi_u32 v10, v5, v13
	s_nop 0
	v_addc_co_u32_e32 v8, vcc, v9, v11, vcc
	v_mov_b32_e32 v9, v4
	s_nop 0
	v_addc_co_u32_e32 v11, vcc, 0, v10, vcc
	v_mul_lo_u32 v10, v5, v13
	v_lshl_add_u64 v[8:9], v[8:9], 0, v[10:11]
	v_add_co_u32_e32 v1, vcc, v1, v8
	v_mul_lo_u32 v10, s2, v1
	s_nop 0
	v_addc_co_u32_e32 v5, vcc, v5, v9, vcc
	v_mul_lo_u32 v8, s2, v5
	v_mul_hi_u32 v9, s2, v1
	v_add_u32_e32 v8, v9, v8
	v_mul_lo_u32 v9, s3, v1
	v_add_u32_e32 v12, v8, v9
	v_mul_hi_u32 v14, v5, v10
	v_mul_lo_u32 v15, v5, v10
	v_mul_hi_u32 v9, v1, v12
	v_mul_lo_u32 v8, v1, v12
	v_mul_hi_u32 v10, v1, v10
	v_mov_b32_e32 v11, v4
	v_lshl_add_u64 v[8:9], v[10:11], 0, v[8:9]
	v_add_co_u32_e32 v8, vcc, v8, v15
	v_mul_hi_u32 v13, v5, v12
	s_nop 0
	v_addc_co_u32_e32 v8, vcc, v9, v14, vcc
	v_mul_lo_u32 v10, v5, v12
	s_nop 0
	v_addc_co_u32_e32 v11, vcc, 0, v13, vcc
	v_mov_b32_e32 v9, v4
	v_lshl_add_u64 v[8:9], v[8:9], 0, v[10:11]
	v_add_co_u32_e32 v1, vcc, v1, v8
	v_mul_hi_u32 v10, v6, v1
	s_nop 0
	v_addc_co_u32_e32 v5, vcc, v5, v9, vcc
	v_mad_u64_u32 v[8:9], s[2:3], v6, v5, 0
	v_mov_b32_e32 v11, v4
	v_lshl_add_u64 v[8:9], v[10:11], 0, v[8:9]
	v_mad_u64_u32 v[12:13], s[2:3], v7, v1, 0
	v_add_co_u32_e32 v1, vcc, v8, v12
	v_mad_u64_u32 v[10:11], s[2:3], v7, v5, 0
	s_nop 0
	v_addc_co_u32_e32 v8, vcc, v9, v13, vcc
	v_mov_b32_e32 v9, v4
	s_nop 0
	v_addc_co_u32_e32 v11, vcc, 0, v11, vcc
	v_lshl_add_u64 v[8:9], v[8:9], 0, v[10:11]
	v_mul_lo_u32 v1, s19, v8
	v_mul_lo_u32 v5, s18, v9
	v_mad_u64_u32 v[10:11], s[2:3], s18, v8, 0
	v_add3_u32 v1, v11, v5, v1
	v_sub_u32_e32 v5, v7, v1
	v_mov_b32_e32 v11, s19
	v_sub_co_u32_e32 v14, vcc, v6, v10
	v_lshl_add_u64 v[12:13], v[8:9], 0, 1
	s_nop 0
	v_subb_co_u32_e64 v5, s[2:3], v5, v11, vcc
	v_subrev_co_u32_e64 v10, s[2:3], s18, v14
	v_subb_co_u32_e32 v1, vcc, v7, v1, vcc
	s_nop 0
	v_subbrev_co_u32_e64 v5, s[2:3], 0, v5, s[2:3]
	v_cmp_le_u32_e64 s[2:3], s19, v5
	v_cmp_le_u32_e32 vcc, s19, v1
	s_nop 0
	v_cndmask_b32_e64 v11, 0, -1, s[2:3]
	v_cmp_le_u32_e64 s[2:3], s18, v10
	s_nop 1
	v_cndmask_b32_e64 v10, 0, -1, s[2:3]
	v_cmp_eq_u32_e64 s[2:3], s19, v5
	s_nop 1
	v_cndmask_b32_e64 v5, v11, v10, s[2:3]
	v_lshl_add_u64 v[10:11], v[8:9], 0, 2
	v_cmp_ne_u32_e64 s[2:3], 0, v5
	s_nop 1
	v_cndmask_b32_e64 v5, v13, v11, s[2:3]
	v_cndmask_b32_e64 v11, 0, -1, vcc
	v_cmp_le_u32_e32 vcc, s18, v14
	s_nop 1
	v_cndmask_b32_e64 v13, 0, -1, vcc
	v_cmp_eq_u32_e32 vcc, s19, v1
	s_nop 1
	v_cndmask_b32_e32 v1, v11, v13, vcc
	v_cmp_ne_u32_e32 vcc, 0, v1
	v_cndmask_b32_e64 v1, v12, v10, s[2:3]
	s_nop 0
	v_cndmask_b32_e32 v9, v9, v5, vcc
	v_cndmask_b32_e32 v8, v8, v1, vcc
.LBB0_4:                                ;   in Loop: Header=BB0_2 Depth=1
	s_andn2_saveexec_b64 s[2:3], s[20:21]
	s_cbranch_execz .LBB0_6
; %bb.5:                                ;   in Loop: Header=BB0_2 Depth=1
	v_cvt_f32_u32_e32 v1, s18
	s_sub_i32 s20, 0, s18
	v_rcp_iflag_f32_e32 v1, v1
	s_nop 0
	v_mul_f32_e32 v1, 0x4f7ffffe, v1
	v_cvt_u32_f32_e32 v1, v1
	v_mul_lo_u32 v5, s20, v1
	v_mul_hi_u32 v5, v1, v5
	v_add_u32_e32 v1, v1, v5
	v_mul_hi_u32 v1, v6, v1
	v_mul_lo_u32 v5, v1, s18
	v_sub_u32_e32 v5, v6, v5
	v_add_u32_e32 v8, 1, v1
	v_subrev_u32_e32 v9, s18, v5
	v_cmp_le_u32_e32 vcc, s18, v5
	s_nop 1
	v_cndmask_b32_e32 v5, v5, v9, vcc
	v_cndmask_b32_e32 v1, v1, v8, vcc
	v_add_u32_e32 v8, 1, v1
	v_cmp_le_u32_e32 vcc, s18, v5
	v_mov_b32_e32 v9, v4
	s_nop 0
	v_cndmask_b32_e32 v8, v1, v8, vcc
.LBB0_6:                                ;   in Loop: Header=BB0_2 Depth=1
	s_or_b64 exec, exec, s[2:3]
	v_mad_u64_u32 v[10:11], s[2:3], v8, s18, 0
	s_load_dwordx2 s[2:3], s[12:13], 0x0
	v_mul_lo_u32 v1, v9, s18
	v_mul_lo_u32 v5, v8, s19
	v_add3_u32 v1, v11, v5, v1
	v_sub_co_u32_e32 v5, vcc, v6, v10
	s_add_u32 s14, s14, 1
	s_nop 0
	v_subb_co_u32_e32 v1, vcc, v7, v1, vcc
	s_addc_u32 s15, s15, 0
	s_waitcnt lgkmcnt(0)
	v_mul_lo_u32 v1, s2, v1
	v_mul_lo_u32 v6, s3, v5
	v_mad_u64_u32 v[2:3], s[2:3], s2, v5, v[2:3]
	s_add_u32 s12, s12, 8
	v_add3_u32 v3, v6, v3, v1
	s_addc_u32 s13, s13, 0
	v_mov_b64_e32 v[6:7], s[6:7]
	s_add_u32 s16, s16, 8
	v_cmp_ge_u64_e32 vcc, s[14:15], v[6:7]
	s_addc_u32 s17, s17, 0
	s_cbranch_vccnz .LBB0_9
; %bb.7:                                ;   in Loop: Header=BB0_2 Depth=1
	v_mov_b64_e32 v[6:7], v[8:9]
	s_branch .LBB0_2
.LBB0_8:
	v_mov_b64_e32 v[8:9], v[6:7]
.LBB0_9:
	s_lshl_b64 s[2:3], s[6:7], 3
	s_add_u32 s2, s10, s2
	s_addc_u32 s3, s11, s3
	s_load_dwordx2 s[6:7], s[2:3], 0x0
	s_load_dwordx2 s[10:11], s[0:1], 0x20
	s_mov_b32 s2, 0x226b903
	s_waitcnt lgkmcnt(0)
	v_mul_lo_u32 v1, s6, v9
	v_mul_lo_u32 v4, s7, v8
	v_mad_u64_u32 v[2:3], s[0:1], s6, v8, v[2:3]
	v_add3_u32 v3, v4, v3, v1
	v_mul_hi_u32 v1, v0, s2
	v_mul_u32_u24_e32 v1, 0x77, v1
	v_sub_u32_e32 v122, v0, v1
	v_cmp_gt_u64_e64 s[0:1], s[10:11], v[8:9]
	v_lshl_add_u64 v[120:121], v[2:3], 4, s[8:9]
	v_lshl_add_u32 v232, v122, 4, 0
	s_and_saveexec_b64 s[2:3], s[0:1]
	s_cbranch_execz .LBB0_11
; %bb.10:
	v_mov_b32_e32 v123, 0
	v_lshl_add_u64 v[40:41], v[122:123], 4, v[120:121]
	v_add_co_u32_e32 v24, vcc, 0x1000, v40
	global_load_dwordx4 v[0:3], v[40:41], off
	global_load_dwordx4 v[4:7], v[40:41], off offset:1904
	v_addc_co_u32_e32 v25, vcc, 0, v41, vcc
	v_add_co_u32_e32 v32, vcc, 0x2000, v40
	global_load_dwordx4 v[8:11], v[40:41], off offset:3808
	global_load_dwordx4 v[12:15], v[24:25], off offset:1616
	v_addc_co_u32_e32 v33, vcc, 0, v41, vcc
	v_add_co_u32_e32 v42, vcc, 0x3000, v40
	global_load_dwordx4 v[16:19], v[24:25], off offset:3520
	;; [unrolled: 4-line block ×4, first 2 shown]
	global_load_dwordx4 v[36:39], v[48:49], off offset:752
	v_addc_co_u32_e32 v51, vcc, 0, v41, vcc
	global_load_dwordx4 v[40:43], v[48:49], off offset:2656
	global_load_dwordx4 v[44:47], v[50:51], off offset:464
	s_waitcnt vmcnt(11)
	ds_write_b128 v232, v[0:3]
	s_waitcnt vmcnt(10)
	ds_write_b128 v232, v[4:7] offset:1904
	s_waitcnt vmcnt(9)
	ds_write_b128 v232, v[8:11] offset:3808
	;; [unrolled: 2-line block ×11, first 2 shown]
.LBB0_11:
	s_or_b64 exec, exec, s[2:3]
	s_waitcnt lgkmcnt(0)
	s_barrier
	ds_read_b128 v[8:11], v232 offset:21504
	ds_read_b128 v[12:15], v232 offset:1344
	ds_read_b128 v[16:19], v232
	ds_read_b128 v[20:23], v232 offset:2688
	ds_read_b128 v[24:27], v232 offset:4032
	;; [unrolled: 1-line block ×4, first 2 shown]
	s_mov_b32 s6, 0xeb564b22
	s_waitcnt lgkmcnt(5)
	v_add_f64 v[128:129], v[14:15], -v[10:11]
	s_mov_b32 s2, 0x3259b75e
	s_mov_b32 s7, 0xbfefdd0d
	;; [unrolled: 1-line block ×3, first 2 shown]
	ds_read_b128 v[36:39], v232 offset:17472
	ds_read_b128 v[40:43], v232 offset:5376
	v_add_f64 v[124:125], v[12:13], v[8:9]
	v_add_f64 v[126:127], v[12:13], -v[8:9]
	s_mov_b32 s3, 0x3fb79ee6
	v_mul_f64 v[78:79], v[128:129], s[6:7]
	s_waitcnt lgkmcnt(3)
	v_add_f64 v[138:139], v[22:23], -v[30:31]
	s_mov_b32 s8, 0x7faef3
	s_mov_b32 s13, 0xbfc7851a
	v_add_f64 v[132:133], v[14:15], v[10:11]
	v_mul_f64 v[106:107], v[126:127], s[6:7]
	v_fma_f64 v[0:1], s[2:3], v[124:125], v[78:79]
	v_add_f64 v[130:131], v[20:21], v[28:29]
	v_add_f64 v[134:135], v[20:21], -v[28:29]
	s_mov_b32 s9, 0xbfef7484
	v_mul_f64 v[108:109], v[138:139], s[12:13]
	s_mov_b32 s14, 0x923c349f
	ds_read_b128 v[44:47], v232 offset:6720
	ds_read_b128 v[48:51], v232 offset:16128
	v_add_f64 v[0:1], v[16:17], v[0:1]
	v_fma_f64 v[2:3], v[132:133], s[2:3], -v[106:107]
	v_add_f64 v[142:143], v[22:23], v[30:31]
	v_mul_f64 v[110:111], v[134:135], s[12:13]
	v_fma_f64 v[4:5], s[8:9], v[130:131], v[108:109]
	s_mov_b32 s10, 0xc61f0d01
	s_mov_b32 s15, 0xbfeec746
	;; [unrolled: 1-line block ×4, first 2 shown]
	s_waitcnt lgkmcnt(4)
	v_add_f64 v[144:145], v[26:27], -v[34:35]
	v_add_f64 v[2:3], v[18:19], v[2:3]
	v_add_f64 v[0:1], v[4:5], v[0:1]
	v_fma_f64 v[4:5], v[142:143], s[8:9], -v[110:111]
	s_mov_b32 s11, 0xbfd183b1
	v_add_f64 v[136:137], v[24:25], v[32:33]
	v_mul_f64 v[112:113], v[144:145], s[20:21]
	v_add_f64 v[140:141], v[24:25], -v[32:33]
	s_mov_b32 s26, 0x5d8e7cdc
	ds_read_b128 v[52:55], v232 offset:14784
	ds_read_b128 v[56:59], v232 offset:8064
	v_add_f64 v[2:3], v[4:5], v[2:3]
	v_fma_f64 v[4:5], s[10:11], v[136:137], v[112:113]
	v_add_f64 v[148:149], v[26:27], v[34:35]
	v_mul_f64 v[114:115], v[140:141], s[20:21]
	s_mov_b32 s16, 0x370991
	s_mov_b32 s27, 0x3fd71e95
	s_waitcnt lgkmcnt(4)
	v_add_f64 v[154:155], v[42:43], -v[38:39]
	v_add_f64 v[0:1], v[4:5], v[0:1]
	v_fma_f64 v[4:5], v[148:149], s[10:11], -v[114:115]
	s_mov_b32 s17, 0x3fedd6d0
	v_add_f64 v[146:147], v[40:41], v[36:37]
	v_mul_f64 v[116:117], v[154:155], s[26:27]
	v_add_f64 v[150:151], v[40:41], -v[36:37]
	s_mov_b32 s22, 0x7c9e640b
	ds_read_b128 v[60:63], v232 offset:9408
	ds_read_b128 v[64:67], v232 offset:13440
	v_add_f64 v[2:3], v[4:5], v[2:3]
	v_fma_f64 v[4:5], s[16:17], v[146:147], v[116:117]
	v_add_f64 v[158:159], v[42:43], v[38:39]
	v_mul_f64 v[118:119], v[150:151], s[26:27]
	s_mov_b32 s18, 0x2b2883cd
	s_mov_b32 s23, 0xbfeca52d
	s_waitcnt lgkmcnt(4)
	v_add_f64 v[160:161], v[46:47], -v[50:51]
	v_add_f64 v[0:1], v[4:5], v[0:1]
	v_fma_f64 v[4:5], v[158:159], s[16:17], -v[118:119]
	s_mov_b32 s19, 0x3fdc86fa
	v_add_f64 v[152:153], v[44:45], v[48:49]
	v_mul_f64 v[188:189], v[160:161], s[22:23]
	v_add_f64 v[156:157], v[44:45], -v[48:49]
	s_mov_b32 s36, 0x4363dd80
	ds_read_b128 v[68:71], v232 offset:10752
	ds_read_b128 v[72:75], v232 offset:12096
	v_add_f64 v[2:3], v[4:5], v[2:3]
	v_fma_f64 v[4:5], s[18:19], v[152:153], v[188:189]
	v_add_f64 v[166:167], v[46:47], v[50:51]
	v_mul_f64 v[190:191], v[156:157], s[22:23]
	s_mov_b32 s24, 0x910ea3b9
	s_mov_b32 s37, 0x3fe0d888
	;; [unrolled: 1-line block ×4, first 2 shown]
	s_waitcnt lgkmcnt(4)
	v_add_f64 v[172:173], v[58:59], -v[54:55]
	v_add_f64 v[0:1], v[4:5], v[0:1]
	v_fma_f64 v[4:5], v[166:167], s[18:19], -v[190:191]
	s_mov_b32 s25, 0xbfeb34fa
	v_add_f64 v[162:163], v[56:57], v[52:53]
	v_mul_f64 v[192:193], v[172:173], s[30:31]
	v_add_f64 v[168:169], v[56:57], -v[52:53]
	s_mov_b32 s40, 0x6c9a05f6
	v_add_f64 v[2:3], v[4:5], v[2:3]
	v_fma_f64 v[4:5], s[24:25], v[162:163], v[192:193]
	v_add_f64 v[178:179], v[58:59], v[54:55]
	v_mul_f64 v[196:197], v[168:169], s[30:31]
	s_mov_b32 s34, 0x6ed5f1bb
	s_mov_b32 s41, 0x3fe9895b
	s_waitcnt lgkmcnt(2)
	v_add_f64 v[176:177], v[62:63], -v[66:67]
	v_add_f64 v[0:1], v[4:5], v[0:1]
	v_fma_f64 v[4:5], v[178:179], s[24:25], -v[196:197]
	s_mov_b32 s35, 0xbfe348c8
	v_add_f64 v[164:165], v[60:61], v[64:65]
	v_mul_f64 v[194:195], v[176:177], s[40:41]
	v_add_f64 v[174:175], v[60:61], -v[64:65]
	s_mov_b32 s42, 0x2a9d6da3
	v_add_f64 v[2:3], v[4:5], v[2:3]
	v_fma_f64 v[4:5], s[34:35], v[164:165], v[194:195]
	v_add_f64 v[184:185], v[62:63], v[66:67]
	v_mul_f64 v[198:199], v[174:175], s[40:41]
	s_mov_b32 s38, 0x75d4884
	s_mov_b32 s43, 0x3fe58eea
	s_waitcnt lgkmcnt(0)
	v_add_f64 v[182:183], v[70:71], -v[74:75]
	v_add_f64 v[0:1], v[4:5], v[0:1]
	v_fma_f64 v[4:5], v[184:185], s[34:35], -v[198:199]
	s_mov_b32 s39, 0x3fe7a5f6
	v_add_f64 v[170:171], v[68:69], v[72:73]
	v_mul_f64 v[200:201], v[182:183], s[42:43]
	v_add_f64 v[180:181], v[68:69], -v[72:73]
	v_add_f64 v[2:3], v[4:5], v[2:3]
	v_fma_f64 v[4:5], s[38:39], v[170:171], v[200:201]
	v_add_f64 v[186:187], v[70:71], v[74:75]
	v_mul_f64 v[202:203], v[180:181], s[42:43]
	v_add_f64 v[0:1], v[4:5], v[0:1]
	v_fma_f64 v[4:5], v[186:187], s[38:39], -v[202:203]
	v_mul_f64 v[100:101], v[128:129], s[14:15]
	v_add_f64 v[2:3], v[4:5], v[2:3]
	v_fma_f64 v[4:5], s[10:11], v[124:125], v[100:101]
	v_mul_f64 v[102:103], v[138:139], s[36:37]
	v_add_f64 v[4:5], v[16:17], v[4:5]
	v_fma_f64 v[6:7], s[24:25], v[130:131], v[102:103]
	v_mul_f64 v[212:213], v[126:127], s[14:15]
	v_add_f64 v[4:5], v[6:7], v[4:5]
	v_fma_f64 v[6:7], v[132:133], s[10:11], -v[212:213]
	v_mul_f64 v[216:217], v[134:135], s[36:37]
	v_add_f64 v[6:7], v[18:19], v[6:7]
	v_fma_f64 v[76:77], v[142:143], s[24:25], -v[216:217]
	v_mul_f64 v[204:205], v[144:145], s[42:43]
	v_add_f64 v[6:7], v[76:77], v[6:7]
	v_fma_f64 v[76:77], s[38:39], v[136:137], v[204:205]
	v_mul_f64 v[220:221], v[140:141], s[42:43]
	v_add_f64 v[4:5], v[76:77], v[4:5]
	v_fma_f64 v[76:77], v[148:149], s[38:39], -v[220:221]
	v_mul_f64 v[206:207], v[154:155], s[22:23]
	v_add_f64 v[6:7], v[76:77], v[6:7]
	v_fma_f64 v[76:77], s[18:19], v[146:147], v[206:207]
	;; [unrolled: 6-line block ×3, first 2 shown]
	v_mul_f64 v[224:225], v[156:157], s[12:13]
	s_mov_b32 s49, 0x3fefdd0d
	s_mov_b32 s48, s6
	v_add_f64 v[4:5], v[76:77], v[4:5]
	v_fma_f64 v[76:77], v[166:167], s[8:9], -v[224:225]
	v_mul_f64 v[210:211], v[172:173], s[48:49]
	v_add_f64 v[6:7], v[76:77], v[6:7]
	v_fma_f64 v[76:77], s[2:3], v[162:163], v[210:211]
	v_mul_f64 v[226:227], v[168:169], s[48:49]
	s_mov_b32 s45, 0xbfd71e95
	s_mov_b32 s44, s26
	v_add_f64 v[4:5], v[76:77], v[4:5]
	v_fma_f64 v[76:77], v[178:179], s[2:3], -v[226:227]
	v_mul_f64 v[214:215], v[176:177], s[44:45]
	v_add_f64 v[6:7], v[76:77], v[6:7]
	v_fma_f64 v[76:77], s[16:17], v[164:165], v[214:215]
	;; [unrolled: 8-line block ×3, first 2 shown]
	v_mul_f64 v[230:231], v[180:181], s[46:47]
	v_add_f64 v[4:5], v[76:77], v[4:5]
	v_fma_f64 v[76:77], v[186:187], s[34:35], -v[230:231]
	s_movk_i32 s28, 0x54
	v_add_f64 v[6:7], v[76:77], v[6:7]
	v_cmp_gt_u32_e32 vcc, s28, v122
	s_barrier
	s_and_saveexec_b64 s[28:29], vcc
	s_cbranch_execz .LBB0_13
; %bb.12:
	v_mul_f64 v[238:239], v[132:133], s[8:9]
	s_mov_b32 s53, 0x3fc7851a
	s_mov_b32 s52, s12
	v_mul_f64 v[234:235], v[142:143], s[16:17]
	v_fma_f64 v[240:241], s[52:53], v[126:127], v[238:239]
	v_mul_f64 v[248:249], v[128:129], s[12:13]
	v_mul_f64 v[96:97], v[148:149], s[24:25]
	v_fma_f64 v[236:237], s[44:45], v[134:135], v[234:235]
	v_add_f64 v[240:241], v[18:19], v[240:241]
	v_mul_f64 v[244:245], v[138:139], s[26:27]
	v_fma_f64 v[250:251], s[8:9], v[124:125], v[248:249]
	v_mul_f64 v[92:93], v[158:159], s[38:39]
	s_mov_b32 s51, 0xbfe58eea
	s_mov_b32 s50, s42
	v_fma_f64 v[98:99], s[36:37], v[140:141], v[96:97]
	v_add_f64 v[236:237], v[236:237], v[240:241]
	v_mul_f64 v[242:243], v[144:145], s[30:31]
	v_fma_f64 v[246:247], s[16:17], v[130:131], v[244:245]
	v_add_f64 v[250:251], v[16:17], v[250:251]
	v_mul_f64 v[88:89], v[166:167], s[34:35]
	;; [unrolled: 3-line block ×3, first 2 shown]
	v_add_f64 v[246:247], v[246:247], v[250:251]
	v_fma_f64 v[250:251], s[24:25], v[136:137], v[242:243]
	v_mul_f64 v[84:85], v[178:179], s[18:19]
	v_fma_f64 v[90:91], s[40:41], v[156:157], v[88:89]
	v_add_f64 v[94:95], v[94:95], v[98:99]
	s_mov_b32 s55, 0x3feca52d
	s_mov_b32 s54, s22
	v_mul_f64 v[236:237], v[160:161], s[46:47]
	v_add_f64 v[246:247], v[250:251], v[246:247]
	v_fma_f64 v[250:251], s[38:39], v[146:147], v[240:241]
	v_mul_f64 v[82:83], v[184:185], s[10:11]
	v_accvgpr_write_b32 a6, v78
	v_fma_f64 v[86:87], s[22:23], v[168:169], v[84:85]
	v_add_f64 v[90:91], v[90:91], v[94:95]
	v_mul_f64 v[98:99], v[172:173], s[54:55]
	v_add_f64 v[246:247], v[250:251], v[246:247]
	v_fma_f64 v[250:251], s[34:35], v[152:153], v[236:237]
	v_mul_f64 v[80:81], v[186:187], s[2:3]
	v_accvgpr_write_b32 a7, v79
	v_fma_f64 v[78:79], s[20:21], v[174:175], v[82:83]
	v_add_f64 v[86:87], v[86:87], v[90:91]
	v_mul_f64 v[90:91], v[176:177], s[14:15]
	v_add_f64 v[246:247], v[250:251], v[246:247]
	v_fma_f64 v[250:251], s[18:19], v[162:163], v[98:99]
	v_fma_f64 v[76:77], s[6:7], v[180:181], v[80:81]
	v_add_f64 v[78:79], v[78:79], v[86:87]
	v_mul_f64 v[86:87], v[182:183], s[48:49]
	v_fma_f64 v[94:95], s[10:11], v[164:165], v[90:91]
	v_add_f64 v[246:247], v[250:251], v[246:247]
	v_add_f64 v[78:79], v[76:77], v[78:79]
	v_fma_f64 v[76:77], s[2:3], v[170:171], v[86:87]
	v_add_f64 v[94:95], v[94:95], v[246:247]
	v_fmac_f64_e32 v[238:239], s[12:13], v[126:127]
	v_add_f64 v[76:77], v[76:77], v[94:95]
	v_fmac_f64_e32 v[234:235], s[26:27], v[134:135]
	;; [unrolled: 2-line block ×6, first 2 shown]
	v_add_f64 v[88:89], v[88:89], v[92:93]
	v_fma_f64 v[96:97], v[124:125], s[8:9], -v[248:249]
	v_fmac_f64_e32 v[82:83], s[14:15], v[174:175]
	v_add_f64 v[84:85], v[84:85], v[88:89]
	v_fma_f64 v[94:95], v[130:131], s[16:17], -v[244:245]
	v_add_f64 v[96:97], v[16:17], v[96:97]
	v_mul_f64 v[244:245], v[132:133], s[24:25]
	v_add_f64 v[82:83], v[82:83], v[84:85]
	v_fma_f64 v[84:85], v[164:165], s[10:11], -v[90:91]
	v_fma_f64 v[90:91], v[146:147], s[38:39], -v[240:241]
	;; [unrolled: 1-line block ×3, first 2 shown]
	v_add_f64 v[94:95], v[94:95], v[96:97]
	v_mul_f64 v[240:241], v[142:143], s[18:19]
	v_fma_f64 v[246:247], s[36:37], v[126:127], v[244:245]
	v_fmac_f64_e32 v[80:81], s[48:49], v[180:181]
	v_fma_f64 v[88:89], v[152:153], s[34:35], -v[236:237]
	v_add_f64 v[92:93], v[92:93], v[94:95]
	v_mul_f64 v[236:237], v[148:149], s[2:3]
	v_fma_f64 v[242:243], s[22:23], v[134:135], v[240:241]
	v_add_f64 v[246:247], v[18:19], v[246:247]
	v_add_f64 v[82:83], v[80:81], v[82:83]
	v_fma_f64 v[80:81], v[170:171], s[2:3], -v[86:87]
	v_fma_f64 v[86:87], v[162:163], s[18:19], -v[98:99]
	v_add_f64 v[90:91], v[90:91], v[92:93]
	v_mul_f64 v[98:99], v[158:159], s[34:35]
	v_fma_f64 v[238:239], s[48:49], v[140:141], v[236:237]
	v_add_f64 v[242:243], v[242:243], v[246:247]
	v_add_f64 v[88:89], v[88:89], v[90:91]
	v_mul_f64 v[94:95], v[166:167], s[16:17]
	v_fma_f64 v[234:235], s[46:47], v[150:151], v[98:99]
	v_add_f64 v[238:239], v[238:239], v[242:243]
	;; [unrolled: 4-line block ×4, first 2 shown]
	v_mul_f64 v[250:251], v[128:129], s[30:31]
	v_add_f64 v[80:81], v[80:81], v[84:85]
	v_fma_f64 v[84:85], s[50:51], v[174:175], v[90:91]
	v_add_f64 v[86:87], v[86:87], v[96:97]
	v_mul_f64 v[248:249], v[138:139], s[54:55]
	v_fma_f64 v[252:253], s[24:25], v[124:125], v[250:251]
	v_fmac_f64_e32 v[244:245], s[30:31], v[126:127]
	v_add_f64 v[84:85], v[84:85], v[86:87]
	v_mul_f64 v[246:247], v[144:145], s[6:7]
	v_fma_f64 v[86:87], s[18:19], v[130:131], v[248:249]
	v_add_f64 v[252:253], v[16:17], v[252:253]
	v_fmac_f64_e32 v[240:241], s[54:55], v[134:135]
	v_add_f64 v[244:245], v[18:19], v[244:245]
	v_mul_f64 v[242:243], v[154:155], s[40:41]
	v_add_f64 v[86:87], v[86:87], v[252:253]
	v_fma_f64 v[252:253], s[2:3], v[136:137], v[246:247]
	v_fmac_f64_e32 v[236:237], s[6:7], v[140:141]
	v_add_f64 v[240:241], v[240:241], v[244:245]
	v_mul_f64 v[238:239], v[160:161], s[44:45]
	v_add_f64 v[86:87], v[252:253], v[86:87]
	v_fma_f64 v[252:253], s[34:35], v[146:147], v[242:243]
	;; [unrolled: 5-line block ×5, first 2 shown]
	v_fmac_f64_e32 v[90:91], s[42:43], v[174:175]
	v_add_f64 v[92:93], v[92:93], v[94:95]
	v_add_f64 v[252:253], v[252:253], v[86:87]
	v_fma_f64 v[86:87], s[20:21], v[180:181], v[88:89]
	v_mul_f64 v[254:255], v[182:183], s[14:15]
	v_add_f64 v[90:91], v[90:91], v[92:93]
	v_fma_f64 v[92:93], v[164:165], s[38:39], -v[96:97]
	v_fma_f64 v[96:97], v[152:153], s[16:17], -v[238:239]
	v_fma_f64 v[238:239], v[124:125], s[24:25], -v[250:251]
	v_add_f64 v[86:87], v[86:87], v[84:85]
	v_fma_f64 v[84:85], s[10:11], v[170:171], v[254:255]
	v_fma_f64 v[236:237], v[130:131], s[18:19], -v[248:249]
	v_add_f64 v[238:239], v[16:17], v[238:239]
	v_mul_f64 v[250:251], v[132:133], s[34:35]
	v_add_f64 v[84:85], v[84:85], v[252:253]
	v_fma_f64 v[94:95], v[162:163], s[8:9], -v[234:235]
	v_fma_f64 v[234:235], v[136:137], s[2:3], -v[246:247]
	v_add_f64 v[236:237], v[236:237], v[238:239]
	v_mul_f64 v[246:247], v[142:143], s[10:11]
	v_fma_f64 v[252:253], s[40:41], v[126:127], v[250:251]
	v_fma_f64 v[98:99], v[146:147], s[34:35], -v[242:243]
	v_add_f64 v[234:235], v[234:235], v[236:237]
	v_mul_f64 v[242:243], v[148:149], s[16:17]
	v_fma_f64 v[248:249], s[14:15], v[134:135], v[246:247]
	v_add_f64 v[252:253], v[18:19], v[252:253]
	v_add_f64 v[98:99], v[98:99], v[234:235]
	v_mul_f64 v[238:239], v[158:159], s[24:25]
	v_fma_f64 v[244:245], s[26:27], v[140:141], v[242:243]
	v_add_f64 v[248:249], v[248:249], v[252:253]
	;; [unrolled: 4-line block ×3, first 2 shown]
	v_fmac_f64_e32 v[88:89], s[14:15], v[180:181]
	v_add_f64 v[94:95], v[94:95], v[96:97]
	v_mul_f64 v[98:99], v[178:179], s[38:39]
	v_fma_f64 v[236:237], s[6:7], v[156:157], v[234:235]
	v_add_f64 v[240:241], v[240:241], v[244:245]
	v_add_f64 v[90:91], v[88:89], v[90:91]
	v_fma_f64 v[88:89], v[170:171], s[10:11], -v[254:255]
	v_add_f64 v[92:93], v[92:93], v[94:95]
	v_mul_f64 v[96:97], v[184:185], s[8:9]
	v_fma_f64 v[94:95], s[42:43], v[168:169], v[98:99]
	v_add_f64 v[236:237], v[236:237], v[240:241]
	v_mul_f64 v[248:249], v[128:129], s[46:47]
	v_add_f64 v[88:89], v[88:89], v[92:93]
	v_fma_f64 v[92:93], s[52:53], v[174:175], v[96:97]
	v_add_f64 v[94:95], v[94:95], v[236:237]
	v_mul_f64 v[244:245], v[138:139], s[20:21]
	v_fma_f64 v[252:253], s[34:35], v[124:125], v[248:249]
	v_add_f64 v[92:93], v[92:93], v[94:95]
	v_mul_f64 v[240:241], v[144:145], s[44:45]
	;; [unrolled: 3-line block ×3, first 2 shown]
	v_add_f64 v[94:95], v[94:95], v[252:253]
	v_fma_f64 v[252:253], s[16:17], v[136:137], v[240:241]
	v_add_f64 v[94:95], v[252:253], v[94:95]
	v_fma_f64 v[252:253], s[24:25], v[146:147], v[236:237]
	v_add_f64 v[94:95], v[252:253], v[94:95]
	v_mul_f64 v[252:253], v[160:161], s[48:49]
	v_fma_f64 v[254:255], s[2:3], v[152:153], v[252:253]
	v_add_f64 v[94:95], v[254:255], v[94:95]
	v_mul_f64 v[254:255], v[172:173], s[50:51]
	v_accvgpr_write_b32 a0, v120
	v_accvgpr_write_b32 a1, v121
	v_fma_f64 v[120:121], s[38:39], v[162:163], v[254:255]
	v_accvgpr_write_b32 a2, v76
	v_add_f64 v[94:95], v[120:121], v[94:95]
	v_mul_f64 v[120:121], v[176:177], s[12:13]
	v_accvgpr_write_b32 a3, v77
	v_accvgpr_write_b32 a4, v78
	;; [unrolled: 1-line block ×3, first 2 shown]
	v_fma_f64 v[76:77], s[8:9], v[164:165], v[120:121]
	v_mul_f64 v[78:79], v[186:187], s[18:19]
	v_add_f64 v[76:77], v[76:77], v[94:95]
	v_fma_f64 v[94:95], s[22:23], v[180:181], v[78:79]
	v_mul_f64 v[104:105], v[182:183], s[54:55]
	v_add_f64 v[94:95], v[94:95], v[92:93]
	v_fma_f64 v[92:93], s[18:19], v[170:171], v[104:105]
	v_fmac_f64_e32 v[250:251], s[46:47], v[126:127]
	v_add_f64 v[92:93], v[92:93], v[76:77]
	v_fmac_f64_e32 v[246:247], s[20:21], v[134:135]
	v_add_f64 v[76:77], v[18:19], v[250:251]
	v_add_f64 v[76:77], v[246:247], v[76:77]
	v_fmac_f64_e32 v[242:243], s[44:45], v[140:141]
	v_add_f64 v[76:77], v[242:243], v[76:77]
	v_fmac_f64_e32 v[238:239], s[30:31], v[150:151]
	;; [unrolled: 2-line block ×5, first 2 shown]
	v_fma_f64 v[98:99], v[124:125], s[34:35], -v[248:249]
	v_add_f64 v[76:77], v[96:97], v[76:77]
	v_fma_f64 v[96:97], v[130:131], s[10:11], -v[244:245]
	v_add_f64 v[98:99], v[16:17], v[98:99]
	v_add_f64 v[96:97], v[96:97], v[98:99]
	v_fma_f64 v[98:99], v[136:137], s[16:17], -v[240:241]
	v_add_f64 v[96:97], v[98:99], v[96:97]
	v_fma_f64 v[98:99], v[146:147], s[24:25], -v[236:237]
	v_add_f64 v[96:97], v[98:99], v[96:97]
	v_fma_f64 v[98:99], v[152:153], s[2:3], -v[252:253]
	v_add_f64 v[96:97], v[98:99], v[96:97]
	v_fma_f64 v[98:99], v[162:163], s[38:39], -v[254:255]
	v_add_f64 v[96:97], v[98:99], v[96:97]
	v_fma_f64 v[98:99], v[164:165], s[8:9], -v[120:121]
	v_fmac_f64_e32 v[78:79], s[54:55], v[180:181]
	v_add_f64 v[96:97], v[98:99], v[96:97]
	v_add_f64 v[98:99], v[78:79], v[76:77]
	v_fma_f64 v[76:77], v[170:171], s[18:19], -v[104:105]
	v_mul_f64 v[104:105], v[184:185], s[16:17]
	v_add_f64 v[104:105], v[228:229], v[104:105]
	v_mul_f64 v[228:229], v[178:179], s[2:3]
	v_mul_f64 v[240:241], v[132:133], s[10:11]
	v_add_f64 v[226:227], v[226:227], v[228:229]
	v_mul_f64 v[228:229], v[166:167], s[8:9]
	;; [unrolled: 3-line block ×3, first 2 shown]
	v_add_f64 v[212:213], v[212:213], v[240:241]
	v_add_f64 v[222:223], v[222:223], v[228:229]
	v_mul_f64 v[228:229], v[148:149], s[38:39]
	v_add_f64 v[120:121], v[216:217], v[120:121]
	v_add_f64 v[212:213], v[18:19], v[212:213]
	;; [unrolled: 1-line block ×7, first 2 shown]
	v_mul_f64 v[242:243], v[124:125], s[10:11]
	v_mul_f64 v[78:79], v[186:187], s[34:35]
	v_add_f64 v[120:121], v[226:227], v[120:121]
	v_mul_f64 v[246:247], v[130:131], s[24:25]
	v_add_f64 v[78:79], v[230:231], v[78:79]
	v_add_f64 v[104:105], v[104:105], v[120:121]
	v_add_f64 v[100:101], v[242:243], -v[100:101]
	v_mul_f64 v[216:217], v[136:137], s[38:39]
	v_add_f64 v[240:241], v[246:247], -v[102:103]
	v_add_f64 v[102:103], v[78:79], v[104:105]
	v_add_f64 v[78:79], v[16:17], v[100:101]
	v_mul_f64 v[238:239], v[132:133], s[2:3]
	v_mul_f64 v[220:221], v[146:147], s[18:19]
	;; [unrolled: 1-line block ×3, first 2 shown]
	v_add_f64 v[204:205], v[216:217], -v[204:205]
	v_add_f64 v[78:79], v[240:241], v[78:79]
	v_mul_f64 v[244:245], v[142:143], s[8:9]
	v_mul_f64 v[226:227], v[152:153], s[8:9]
	v_add_f64 v[120:121], v[120:121], -v[218:219]
	v_mul_f64 v[218:219], v[164:165], s[16:17]
	v_add_f64 v[206:207], v[220:221], -v[206:207]
	v_add_f64 v[78:79], v[204:205], v[78:79]
	v_add_f64 v[106:107], v[106:107], v[238:239]
	v_mul_f64 v[228:229], v[148:149], s[10:11]
	v_add_f64 v[214:215], v[218:219], -v[214:215]
	v_mul_f64 v[218:219], v[162:163], s[2:3]
	v_add_f64 v[208:209], v[226:227], -v[208:209]
	v_add_f64 v[78:79], v[206:207], v[78:79]
	v_add_f64 v[110:111], v[110:111], v[244:245]
	;; [unrolled: 1-line block ×3, first 2 shown]
	v_mul_f64 v[212:213], v[158:159], s[16:17]
	v_add_f64 v[210:211], v[218:219], -v[210:211]
	v_add_f64 v[78:79], v[208:209], v[78:79]
	v_add_f64 v[114:115], v[114:115], v[228:229]
	;; [unrolled: 1-line block ×4, first 2 shown]
	v_mul_f64 v[76:77], v[136:137], s[10:11]
	v_mul_f64 v[224:225], v[166:167], s[18:19]
	v_add_f64 v[78:79], v[210:211], v[78:79]
	v_add_f64 v[118:119], v[118:119], v[212:213]
	;; [unrolled: 1-line block ×3, first 2 shown]
	v_mul_f64 v[226:227], v[178:179], s[24:25]
	v_add_f64 v[78:79], v[214:215], v[78:79]
	v_add_f64 v[190:191], v[190:191], v[224:225]
	;; [unrolled: 1-line block ×3, first 2 shown]
	v_add_f64 v[76:77], v[76:77], -v[112:113]
	v_accvgpr_read_b32 v113, a7
	v_mul_f64 v[234:235], v[124:125], s[2:3]
	v_mul_f64 v[216:217], v[184:185], s[34:35]
	v_add_f64 v[100:101], v[120:121], v[78:79]
	v_add_f64 v[120:121], v[196:197], v[226:227]
	;; [unrolled: 1-line block ×3, first 2 shown]
	v_accvgpr_read_b32 v112, a6
	v_mul_f64 v[236:237], v[130:131], s[8:9]
	v_mul_f64 v[242:243], v[186:187], s[38:39]
	v_add_f64 v[104:105], v[198:199], v[216:217]
	v_add_f64 v[106:107], v[120:121], v[106:107]
	v_add_f64 v[112:113], v[234:235], -v[112:113]
	v_mul_f64 v[220:221], v[164:165], s[34:35]
	v_mul_f64 v[246:247], v[170:171], s[38:39]
	v_add_f64 v[78:79], v[202:203], v[242:243]
	v_add_f64 v[104:105], v[104:105], v[106:107]
	v_add_f64 v[108:109], v[236:237], -v[108:109]
	v_add_f64 v[112:113], v[16:17], v[112:113]
	v_mul_f64 v[198:199], v[132:133], s[18:19]
	v_mul_f64 v[230:231], v[146:147], s[16:17]
	v_add_f64 v[110:111], v[78:79], v[104:105]
	v_add_f64 v[78:79], v[246:247], -v[200:201]
	v_add_f64 v[104:105], v[220:221], -v[194:195]
	v_add_f64 v[108:109], v[108:109], v[112:113]
	v_mul_f64 v[194:195], v[142:143], s[34:35]
	v_fma_f64 v[200:201], s[54:55], v[126:127], v[198:199]
	v_mul_f64 v[222:223], v[152:153], s[18:19]
	v_mul_f64 v[218:219], v[162:163], s[24:25]
	v_add_f64 v[116:117], v[230:231], -v[116:117]
	v_add_f64 v[76:77], v[76:77], v[108:109]
	v_mul_f64 v[190:191], v[148:149], s[8:9]
	v_fma_f64 v[196:197], s[40:41], v[134:135], v[194:195]
	v_add_f64 v[200:201], v[18:19], v[200:201]
	v_mul_f64 v[216:217], v[128:129], s[22:23]
	v_add_f64 v[106:107], v[218:219], -v[192:193]
	v_add_f64 v[114:115], v[222:223], -v[188:189]
	v_add_f64 v[76:77], v[116:117], v[76:77]
	v_mul_f64 v[120:121], v[158:159], s[10:11]
	v_fma_f64 v[192:193], s[12:13], v[140:141], v[190:191]
	v_add_f64 v[196:197], v[196:197], v[200:201]
	v_mul_f64 v[212:213], v[138:139], s[46:47]
	v_fma_f64 v[218:219], s[18:19], v[124:125], v[216:217]
	;; [unrolled: 3-line block ×4, first 2 shown]
	v_add_f64 v[218:219], v[16:17], v[218:219]
	v_add_f64 v[76:77], v[106:107], v[76:77]
	v_mul_f64 v[114:115], v[178:179], s[16:17]
	v_fma_f64 v[118:119], s[50:51], v[156:157], v[116:117]
	v_add_f64 v[188:189], v[188:189], v[192:193]
	v_mul_f64 v[204:205], v[154:155], s[20:21]
	v_fma_f64 v[210:211], s[8:9], v[136:137], v[208:209]
	v_add_f64 v[214:215], v[214:215], v[218:219]
	v_add_f64 v[76:77], v[104:105], v[76:77]
	v_mul_f64 v[112:113], v[184:185], s[2:3]
	v_fma_f64 v[106:107], s[26:27], v[168:169], v[114:115]
	v_add_f64 v[118:119], v[118:119], v[188:189]
	v_mul_f64 v[200:201], v[160:161], s[42:43]
	v_fma_f64 v[206:207], s[10:11], v[146:147], v[204:205]
	;; [unrolled: 7-line block ×3, first 2 shown]
	v_add_f64 v[206:207], v[206:207], v[210:211]
	v_fma_f64 v[78:79], s[36:37], v[180:181], v[76:77]
	v_add_f64 v[104:105], v[104:105], v[106:107]
	v_mul_f64 v[188:189], v[176:177], s[6:7]
	v_fma_f64 v[196:197], s[16:17], v[162:163], v[192:193]
	v_add_f64 v[202:203], v[202:203], v[206:207]
	v_add_f64 v[106:107], v[78:79], v[104:105]
	v_mul_f64 v[78:79], v[182:183], s[30:31]
	v_fma_f64 v[118:119], s[2:3], v[164:165], v[188:189]
	v_add_f64 v[196:197], v[196:197], v[202:203]
	v_fma_f64 v[104:105], s[24:25], v[170:171], v[78:79]
	v_add_f64 v[118:119], v[118:119], v[196:197]
	v_fmac_f64_e32 v[198:199], s[22:23], v[126:127]
	v_add_f64 v[104:105], v[104:105], v[118:119]
	v_fmac_f64_e32 v[194:195], s[46:47], v[134:135]
	;; [unrolled: 2-line block ×8, first 2 shown]
	v_add_f64 v[112:113], v[112:113], v[114:115]
	v_fma_f64 v[190:191], v[124:125], s[18:19], -v[216:217]
	v_add_f64 v[118:119], v[76:77], v[112:113]
	v_fma_f64 v[76:77], v[170:171], s[24:25], -v[78:79]
	v_fma_f64 v[78:79], v[164:165], s[2:3], -v[188:189]
	;; [unrolled: 1-line block ×3, first 2 shown]
	v_add_f64 v[190:191], v[16:17], v[190:191]
	v_mul_f64 v[206:207], v[132:133], s[38:39]
	v_fma_f64 v[120:121], v[136:137], s[8:9], -v[208:209]
	v_add_f64 v[188:189], v[188:189], v[190:191]
	v_mul_f64 v[202:203], v[142:143], s[2:3]
	v_fma_f64 v[208:209], s[42:43], v[126:127], v[206:207]
	v_fma_f64 v[116:117], v[146:147], s[10:11], -v[204:205]
	v_add_f64 v[120:121], v[120:121], v[188:189]
	v_mul_f64 v[198:199], v[148:149], s[34:35]
	v_fma_f64 v[204:205], s[48:49], v[134:135], v[202:203]
	v_add_f64 v[208:209], v[18:19], v[208:209]
	v_mul_f64 v[224:225], v[128:129], s[50:51]
	v_fma_f64 v[114:115], v[152:153], s[38:39], -v[200:201]
	v_add_f64 v[116:117], v[116:117], v[120:121]
	v_mul_f64 v[194:195], v[158:159], s[8:9]
	v_fma_f64 v[200:201], s[40:41], v[140:141], v[198:199]
	v_add_f64 v[204:205], v[204:205], v[208:209]
	v_mul_f64 v[220:221], v[138:139], s[6:7]
	v_fma_f64 v[226:227], s[38:39], v[124:125], v[224:225]
	v_fma_f64 v[112:113], v[162:163], s[16:17], -v[192:193]
	v_add_f64 v[114:115], v[114:115], v[116:117]
	v_mul_f64 v[190:191], v[166:167], s[24:25]
	v_fma_f64 v[196:197], s[52:53], v[150:151], v[194:195]
	v_add_f64 v[200:201], v[200:201], v[204:205]
	v_mul_f64 v[216:217], v[144:145], s[46:47]
	v_fma_f64 v[222:223], s[2:3], v[130:131], v[220:221]
	v_add_f64 v[226:227], v[16:17], v[226:227]
	v_add_f64 v[112:113], v[112:113], v[114:115]
	v_mul_f64 v[188:189], v[178:179], s[10:11]
	v_fma_f64 v[192:193], s[30:31], v[156:157], v[190:191]
	v_add_f64 v[196:197], v[196:197], v[200:201]
	v_mul_f64 v[212:213], v[154:155], s[12:13]
	v_fma_f64 v[218:219], s[34:35], v[136:137], v[216:217]
	v_add_f64 v[222:223], v[222:223], v[226:227]
	;; [unrolled: 7-line block ×4, first 2 shown]
	v_fma_f64 v[78:79], s[44:45], v[180:181], v[76:77]
	v_add_f64 v[112:113], v[112:113], v[114:115]
	v_mul_f64 v[192:193], v[176:177], s[54:55]
	v_fma_f64 v[204:205], s[10:11], v[162:163], v[200:201]
	v_add_f64 v[210:211], v[210:211], v[214:215]
	v_add_f64 v[114:115], v[78:79], v[112:113]
	v_mul_f64 v[78:79], v[182:183], s[26:27]
	v_fma_f64 v[196:197], s[18:19], v[164:165], v[192:193]
	v_add_f64 v[204:205], v[204:205], v[210:211]
	v_fma_f64 v[112:113], s[16:17], v[170:171], v[78:79]
	v_add_f64 v[196:197], v[196:197], v[204:205]
	v_fmac_f64_e32 v[206:207], s[50:51], v[126:127]
	v_add_f64 v[112:113], v[112:113], v[196:197]
	v_fmac_f64_e32 v[202:203], s[6:7], v[134:135]
	;; [unrolled: 2-line block ×6, first 2 shown]
	v_add_f64 v[190:191], v[190:191], v[194:195]
	v_fma_f64 v[198:199], v[124:125], s[38:39], -v[224:225]
	v_add_f64 v[14:15], v[18:19], v[14:15]
	v_add_f64 v[12:13], v[16:17], v[12:13]
	v_fmac_f64_e32 v[120:121], s[54:55], v[174:175]
	v_add_f64 v[188:189], v[188:189], v[190:191]
	v_fma_f64 v[196:197], v[130:131], s[2:3], -v[220:221]
	v_add_f64 v[198:199], v[16:17], v[198:199]
	v_add_f64 v[14:15], v[14:15], v[22:23]
	;; [unrolled: 1-line block ×3, first 2 shown]
	v_fmac_f64_e32 v[76:77], s[26:27], v[180:181]
	v_add_f64 v[120:121], v[120:121], v[188:189]
	v_fma_f64 v[194:195], v[136:137], s[34:35], -v[216:217]
	v_add_f64 v[196:197], v[196:197], v[198:199]
	v_add_f64 v[14:15], v[14:15], v[26:27]
	;; [unrolled: 1-line block ×4, first 2 shown]
	v_fma_f64 v[76:77], v[170:171], s[16:17], -v[78:79]
	v_fma_f64 v[78:79], v[164:165], s[18:19], -v[192:193]
	;; [unrolled: 1-line block ×3, first 2 shown]
	v_add_f64 v[194:195], v[194:195], v[196:197]
	v_mul_f64 v[132:133], v[132:133], s[16:17]
	v_add_f64 v[14:15], v[14:15], v[42:43]
	v_add_f64 v[12:13], v[12:13], v[40:41]
	v_fma_f64 v[120:121], v[162:163], s[10:11], -v[200:201]
	v_fma_f64 v[188:189], v[152:153], s[24:25], -v[208:209]
	v_add_f64 v[192:193], v[192:193], v[194:195]
	v_mul_f64 v[142:143], v[142:143], s[38:39]
	v_fma_f64 v[200:201], s[26:27], v[126:127], v[132:133]
	v_fmac_f64_e32 v[132:133], s[44:45], v[126:127]
	v_add_f64 v[14:15], v[14:15], v[46:47]
	v_add_f64 v[12:13], v[12:13], v[44:45]
	;; [unrolled: 1-line block ×3, first 2 shown]
	v_mul_f64 v[148:149], v[148:149], s[18:19]
	v_fma_f64 v[198:199], s[42:43], v[134:135], v[142:143]
	v_add_f64 v[200:201], v[18:19], v[200:201]
	v_fmac_f64_e32 v[142:143], s[50:51], v[134:135]
	v_add_f64 v[126:127], v[18:19], v[132:133]
	v_add_f64 v[14:15], v[14:15], v[58:59]
	;; [unrolled: 1-line block ×4, first 2 shown]
	v_mul_f64 v[158:159], v[158:159], s[2:3]
	v_fma_f64 v[196:197], s[54:55], v[140:141], v[148:149]
	v_add_f64 v[198:199], v[198:199], v[200:201]
	v_mul_f64 v[128:129], v[128:129], s[44:45]
	v_fmac_f64_e32 v[148:149], s[22:23], v[140:141]
	v_add_f64 v[126:127], v[142:143], v[126:127]
	v_add_f64 v[14:15], v[14:15], v[62:63]
	;; [unrolled: 1-line block ×4, first 2 shown]
	v_mul_f64 v[166:167], v[166:167], s[10:11]
	v_fma_f64 v[194:195], s[48:49], v[150:151], v[158:159]
	v_add_f64 v[196:197], v[196:197], v[198:199]
	v_mul_f64 v[138:139], v[138:139], s[50:51]
	v_fma_f64 v[202:203], s[16:17], v[124:125], v[128:129]
	v_fmac_f64_e32 v[158:159], s[6:7], v[150:151]
	v_add_f64 v[126:127], v[148:149], v[126:127]
	v_fma_f64 v[124:125], v[124:125], s[16:17], -v[128:129]
	v_add_f64 v[14:15], v[14:15], v[70:71]
	v_add_f64 v[12:13], v[12:13], v[68:69]
	;; [unrolled: 1-line block ×3, first 2 shown]
	v_mul_f64 v[76:77], v[186:187], s[8:9]
	v_mul_f64 v[186:187], v[178:179], s[34:35]
	v_fma_f64 v[192:193], s[20:21], v[156:157], v[166:167]
	v_add_f64 v[194:195], v[194:195], v[196:197]
	v_mul_f64 v[144:145], v[144:145], s[22:23]
	v_fma_f64 v[200:201], s[38:39], v[130:131], v[138:139]
	v_fmac_f64_e32 v[166:167], s[14:15], v[156:157]
	v_add_f64 v[126:127], v[158:159], v[126:127]
	v_fma_f64 v[130:131], v[130:131], s[38:39], -v[138:139]
	v_add_f64 v[124:125], v[16:17], v[124:125]
	v_add_f64 v[14:15], v[14:15], v[74:75]
	;; [unrolled: 1-line block ×3, first 2 shown]
	v_mul_f64 v[120:121], v[184:185], s[24:25]
	v_fma_f64 v[178:179], s[40:41], v[168:169], v[186:187]
	v_add_f64 v[192:193], v[192:193], v[194:195]
	v_mul_f64 v[154:155], v[154:155], s[6:7]
	v_fma_f64 v[198:199], s[18:19], v[136:137], v[144:145]
	v_add_f64 v[202:203], v[16:17], v[202:203]
	v_fmac_f64_e32 v[186:187], s[46:47], v[168:169]
	v_add_f64 v[126:127], v[166:167], v[126:127]
	v_fma_f64 v[136:137], v[136:137], s[18:19], -v[144:145]
	v_add_f64 v[124:125], v[130:131], v[124:125]
	v_add_f64 v[14:15], v[14:15], v[66:67]
	;; [unrolled: 1-line block ×3, first 2 shown]
	v_fma_f64 v[184:185], s[36:37], v[174:175], v[120:121]
	v_add_f64 v[178:179], v[178:179], v[192:193]
	v_mul_f64 v[160:161], v[160:161], s[14:15]
	v_add_f64 v[200:201], v[200:201], v[202:203]
	v_fmac_f64_e32 v[120:121], s[30:31], v[174:175]
	v_add_f64 v[126:127], v[186:187], v[126:127]
	v_fma_f64 v[134:135], v[146:147], s[2:3], -v[154:155]
	v_add_f64 v[124:125], v[136:137], v[124:125]
	v_add_f64 v[14:15], v[14:15], v[54:55]
	;; [unrolled: 1-line block ×3, first 2 shown]
	v_fma_f64 v[78:79], s[52:53], v[180:181], v[76:77]
	v_add_f64 v[178:179], v[184:185], v[178:179]
	v_mul_f64 v[172:173], v[172:173], s[46:47]
	v_fma_f64 v[196:197], s[2:3], v[146:147], v[154:155]
	v_add_f64 v[198:199], v[198:199], v[200:201]
	v_fmac_f64_e32 v[76:77], s[12:13], v[180:181]
	v_add_f64 v[120:121], v[120:121], v[126:127]
	v_fma_f64 v[132:133], v[152:153], s[10:11], -v[160:161]
	v_add_f64 v[124:125], v[134:135], v[124:125]
	v_add_f64 v[14:15], v[14:15], v[50:51]
	;; [unrolled: 1-line block ×4, first 2 shown]
	v_mul_f64 v[78:79], v[182:183], s[12:13]
	v_mul_f64 v[184:185], v[176:177], s[30:31]
	v_fma_f64 v[194:195], s[10:11], v[152:153], v[160:161]
	v_add_f64 v[196:197], v[196:197], v[198:199]
	v_add_f64 v[126:127], v[76:77], v[120:121]
	v_fma_f64 v[120:121], v[162:163], s[34:35], -v[172:173]
	v_add_f64 v[124:125], v[132:133], v[124:125]
	v_add_f64 v[14:15], v[14:15], v[38:39]
	;; [unrolled: 1-line block ×3, first 2 shown]
	v_fma_f64 v[182:183], s[8:9], v[170:171], v[78:79]
	v_fma_f64 v[192:193], s[34:35], v[162:163], v[172:173]
	v_add_f64 v[194:195], v[194:195], v[196:197]
	v_fma_f64 v[76:77], v[170:171], s[8:9], -v[78:79]
	v_fma_f64 v[78:79], v[164:165], s[24:25], -v[184:185]
	v_add_f64 v[120:121], v[120:121], v[124:125]
	v_add_f64 v[14:15], v[14:15], v[34:35]
	v_add_f64 v[12:13], v[12:13], v[32:33]
	v_fma_f64 v[176:177], s[24:25], v[164:165], v[184:185]
	v_add_f64 v[192:193], v[192:193], v[194:195]
	v_add_f64 v[78:79], v[78:79], v[120:121]
	v_accvgpr_read_b32 v121, a1
	v_add_f64 v[14:15], v[14:15], v[30:31]
	v_add_f64 v[12:13], v[12:13], v[28:29]
	;; [unrolled: 1-line block ×3, first 2 shown]
	v_accvgpr_read_b32 v120, a0
	v_add_f64 v[10:11], v[14:15], v[10:11]
	v_add_f64 v[8:9], v[12:13], v[8:9]
	v_lshl_add_u32 v12, v122, 8, v232
	v_add_f64 v[176:177], v[182:183], v[176:177]
	v_add_f64 v[124:125], v[76:77], v[78:79]
	ds_write_b128 v12, v[8:11]
	ds_write_b128 v12, v[124:127] offset:16
	ds_write_b128 v12, v[188:191] offset:32
	;; [unrolled: 1-line block ×16, first 2 shown]
.LBB0_13:
	s_or_b64 exec, exec, s[28:29]
	s_movk_i32 s2, 0xf1
	v_add_u16_e32 v57, 0x77, v122
	v_add_u32_e32 v16, 0xee, v122
	v_mul_lo_u16_sdwa v63, v122, s2 dst_sel:DWORD dst_unused:UNUSED_PAD src0_sel:BYTE_0 src1_sel:DWORD
	v_mul_lo_u16_sdwa v59, v57, s2 dst_sel:DWORD dst_unused:UNUSED_PAD src0_sel:BYTE_0 src1_sel:DWORD
	s_mov_b32 s2, 0xf0f1
	v_mul_u32_u24_sdwa v18, v16, s2 dst_sel:DWORD dst_unused:UNUSED_PAD src0_sel:WORD_0 src1_sel:DWORD
	v_lshrrev_b32_e32 v100, 20, v18
	v_mul_lo_u16_e32 v18, 17, v100
	v_add_u32_e32 v17, 0x253, v122
	v_sub_u16_e32 v16, v16, v18
	v_lshrrev_b16_e32 v96, 12, v63
	v_lshlrev_b32_e32 v101, 4, v16
	v_mul_u32_u24_sdwa v16, v17, s2 dst_sel:DWORD dst_unused:UNUSED_PAD src0_sel:WORD_0 src1_sel:DWORD
	v_mul_lo_u16_e32 v8, 17, v96
	v_lshrrev_b32_e32 v102, 20, v16
	v_sub_u16_e32 v8, v122, v8
	v_mov_b32_e32 v62, 4
	v_lshrrev_b16_e32 v98, 12, v59
	v_mul_lo_u16_e32 v16, 17, v102
	v_lshlrev_b32_sdwa v97, v62, v8 dst_sel:DWORD dst_unused:UNUSED_PAD src0_sel:DWORD src1_sel:BYTE_0
	v_mul_lo_u16_e32 v8, 17, v98
	v_sub_u16_e32 v20, v17, v16
	v_sub_u16_e32 v8, v57, v8
	v_lshlrev_b32_e32 v103, 4, v20
	v_add_u32_e32 v58, 0x165, v122
	s_waitcnt lgkmcnt(0)
	s_barrier
	v_lshlrev_b32_sdwa v99, v62, v8 dst_sel:DWORD dst_unused:UNUSED_PAD src0_sel:DWORD src1_sel:BYTE_0
	global_load_dwordx4 v[8:11], v97, s[4:5]
	global_load_dwordx4 v[12:15], v99, s[4:5]
	;; [unrolled: 1-line block ×4, first 2 shown]
	v_mul_u32_u24_sdwa v24, v58, s2 dst_sel:DWORD dst_unused:UNUSED_PAD src0_sel:WORD_0 src1_sel:DWORD
	v_add_u32_e32 v56, 0x1dc, v122
	v_lshrrev_b32_e32 v104, 20, v24
	v_mul_u32_u24_sdwa v25, v56, s2 dst_sel:DWORD dst_unused:UNUSED_PAD src0_sel:WORD_0 src1_sel:DWORD
	v_mul_lo_u16_e32 v24, 17, v104
	v_lshrrev_b32_e32 v105, 20, v25
	v_sub_u16_e32 v24, v58, v24
	v_lshlrev_b32_e32 v106, 4, v24
	v_mul_lo_u16_e32 v28, 17, v105
	global_load_dwordx4 v[24:27], v106, s[4:5]
	v_sub_u16_e32 v28, v56, v28
	v_lshlrev_b32_e32 v107, 4, v28
	global_load_dwordx4 v[28:31], v107, s[4:5]
	ds_read_b128 v[32:35], v232
	ds_read_b128 v[36:39], v232 offset:1904
	ds_read_b128 v[40:43], v232 offset:11424
	;; [unrolled: 1-line block ×9, first 2 shown]
	v_lshl_add_u32 v61, v58, 4, 0
	v_lshl_add_u32 v60, v56, 4, 0
	ds_read_b128 v[80:83], v61
	ds_read_b128 v[84:87], v60
	s_mov_b32 s3, 0x5040100
	s_movk_i32 s2, 0x220
	s_waitcnt lgkmcnt(0)
	s_barrier
	s_waitcnt vmcnt(5)
	v_mul_f64 v[88:89], v[42:43], v[10:11]
	v_mul_f64 v[10:11], v[40:41], v[10:11]
	s_waitcnt vmcnt(4)
	v_mul_f64 v[90:91], v[46:47], v[14:15]
	v_mul_f64 v[14:15], v[44:45], v[14:15]
	;; [unrolled: 3-line block ×3, first 2 shown]
	s_waitcnt vmcnt(2)
	v_mul_f64 v[94:95], v[78:79], v[22:23]
	v_fma_f64 v[40:41], v[40:41], v[8:9], -v[88:89]
	v_fmac_f64_e32 v[10:11], v[42:43], v[8:9]
	v_fma_f64 v[8:9], v[44:45], v[12:13], -v[90:91]
	v_fmac_f64_e32 v[14:15], v[46:47], v[12:13]
	;; [unrolled: 2-line block ×3, first 2 shown]
	v_fma_f64 v[16:17], v[76:77], v[20:21], -v[94:95]
	v_mul_f64 v[22:23], v[76:77], v[22:23]
	v_add_f64 v[44:45], v[36:37], -v[8:9]
	v_add_f64 v[16:17], v[68:69], -v[16:17]
	v_mul_u32_u24_e32 v8, 0x220, v96
	v_fmac_f64_e32 v[22:23], v[78:79], v[20:21]
	v_add_f64 v[40:41], v[32:33], -v[40:41]
	v_add_f64 v[42:43], v[34:35], -v[10:11]
	;; [unrolled: 1-line block ×3, first 2 shown]
	v_fma_f64 v[12:13], v[68:69], 2.0, -v[16:17]
	v_add3_u32 v68, 0, v8, v97
	v_mul_u32_u24_e32 v8, 0x220, v98
	v_add_f64 v[46:47], v[38:39], -v[14:15]
	v_add_f64 v[50:51], v[66:67], -v[18:19]
	v_fma_f64 v[32:33], v[32:33], 2.0, -v[40:41]
	v_fma_f64 v[34:35], v[34:35], 2.0, -v[42:43]
	v_add_f64 v[18:19], v[70:71], -v[22:23]
	v_add3_u32 v69, 0, v8, v99
	v_mul_u32_u24_e32 v8, 0x220, v100
	v_fma_f64 v[36:37], v[36:37], 2.0, -v[44:45]
	v_fma_f64 v[38:39], v[38:39], 2.0, -v[46:47]
	v_fma_f64 v[64:65], v[64:65], 2.0, -v[48:49]
	v_fma_f64 v[66:67], v[66:67], 2.0, -v[50:51]
	v_fma_f64 v[14:15], v[70:71], 2.0, -v[18:19]
	v_add3_u32 v70, 0, v8, v101
	s_waitcnt vmcnt(1)
	v_mul_f64 v[8:9], v[54:55], v[26:27]
	v_mul_f64 v[10:11], v[52:53], v[26:27]
	ds_write_b128 v68, v[32:35]
	ds_write_b128 v68, v[40:43] offset:272
	ds_write_b128 v69, v[36:39]
	ds_write_b128 v69, v[44:47] offset:272
	;; [unrolled: 2-line block ×3, first 2 shown]
	v_perm_b32 v32, v105, v104, s3
	v_fma_f64 v[8:9], v[52:53], v[24:25], -v[8:9]
	v_fmac_f64_e32 v[10:11], v[54:55], v[24:25]
	v_pk_mul_lo_u16 v32, v32, s2 op_sel_hi:[1,0]
	s_waitcnt vmcnt(0)
	v_mul_f64 v[20:21], v[74:75], v[30:31]
	v_mul_f64 v[22:23], v[72:73], v[30:31]
	v_add_f64 v[8:9], v[80:81], -v[8:9]
	v_add_f64 v[10:11], v[82:83], -v[10:11]
	v_and_b32_e32 v33, 0xffe0, v32
	v_fma_f64 v[20:21], v[72:73], v[28:29], -v[20:21]
	v_fmac_f64_e32 v[22:23], v[74:75], v[28:29]
	v_fma_f64 v[28:29], v[80:81], 2.0, -v[8:9]
	v_fma_f64 v[30:31], v[82:83], 2.0, -v[10:11]
	v_add3_u32 v33, 0, v33, v106
	v_add_f64 v[24:25], v[84:85], -v[20:21]
	v_add_f64 v[26:27], v[86:87], -v[22:23]
	ds_write_b128 v33, v[28:31]
	ds_write_b128 v33, v[8:11] offset:272
	v_lshrrev_b32_e32 v28, 16, v32
	v_fma_f64 v[20:21], v[84:85], 2.0, -v[24:25]
	v_fma_f64 v[22:23], v[86:87], 2.0, -v[26:27]
	v_add3_u32 v28, 0, v28, v107
	ds_write_b128 v28, v[20:23]
	ds_write_b128 v28, v[24:27] offset:272
	v_mul_u32_u24_e32 v28, 0x220, v102
	v_add3_u32 v28, 0, v28, v103
	ds_write_b128 v28, v[12:15]
	ds_write_b128 v28, v[16:19] offset:272
	s_waitcnt lgkmcnt(0)
	s_barrier
	ds_read_b128 v[28:31], v232
	ds_read_b128 v[52:55], v232 offset:3264
	ds_read_b128 v[48:51], v232 offset:6528
	;; [unrolled: 1-line block ×6, first 2 shown]
	s_movk_i32 s2, 0x55
	v_cmp_gt_u32_e32 vcc, s2, v122
	s_and_saveexec_b64 s[2:3], vcc
	s_cbranch_execz .LBB0_15
; %bb.14:
	ds_read_b128 v[8:11], v232 offset:1904
	ds_read_b128 v[20:23], v232 offset:5168
	;; [unrolled: 1-line block ×7, first 2 shown]
.LBB0_15:
	s_or_b64 exec, exec, s[2:3]
	v_lshrrev_b16_e32 v100, 13, v63
	v_mul_lo_u16_e32 v63, 34, v100
	v_sub_u16_e32 v101, v122, v63
	v_mov_b32_e32 v63, 6
	v_mul_u32_u24_sdwa v64, v101, v63 dst_sel:DWORD dst_unused:UNUSED_PAD src0_sel:BYTE_0 src1_sel:DWORD
	v_lshlrev_b32_e32 v88, 4, v64
	global_load_dwordx4 v[64:67], v88, s[4:5] offset:272
	global_load_dwordx4 v[68:71], v88, s[4:5] offset:288
	;; [unrolled: 1-line block ×6, first 2 shown]
	s_mov_b32 s6, 0x37e14327
	s_mov_b32 s8, 0x36b3c0b5
	;; [unrolled: 1-line block ×20, first 2 shown]
	v_lshlrev_b32_sdwa v62, v62, v101 dst_sel:DWORD dst_unused:UNUSED_PAD src0_sel:DWORD src1_sel:BYTE_0
	s_waitcnt lgkmcnt(0)
	s_barrier
	s_waitcnt vmcnt(5)
	v_mul_f64 v[88:89], v[54:55], v[66:67]
	v_mul_f64 v[66:67], v[52:53], v[66:67]
	s_waitcnt vmcnt(4)
	v_mul_f64 v[90:91], v[50:51], v[70:71]
	v_mul_f64 v[70:71], v[48:49], v[70:71]
	;; [unrolled: 3-line block ×4, first 2 shown]
	v_mul_f64 v[92:93], v[46:47], v[74:75]
	v_mul_f64 v[74:75], v[44:45], v[74:75]
	;; [unrolled: 1-line block ×4, first 2 shown]
	v_fma_f64 v[52:53], v[52:53], v[64:65], -v[88:89]
	v_fmac_f64_e32 v[66:67], v[54:55], v[64:65]
	v_fma_f64 v[48:49], v[48:49], v[68:69], -v[90:91]
	v_fmac_f64_e32 v[70:71], v[50:51], v[68:69]
	;; [unrolled: 2-line block ×6, first 2 shown]
	v_add_f64 v[34:35], v[52:53], v[32:33]
	v_add_f64 v[38:39], v[66:67], v[86:87]
	v_add_f64 v[46:47], v[48:49], v[36:37]
	v_add_f64 v[50:51], v[70:71], v[82:83]
	v_add_f64 v[32:33], v[52:53], -v[32:33]
	v_add_f64 v[42:43], v[66:67], -v[86:87]
	v_add_f64 v[52:53], v[44:45], v[40:41]
	v_add_f64 v[54:55], v[74:75], v[78:79]
	;; [unrolled: 1-line block ×4, first 2 shown]
	v_add_f64 v[36:37], v[48:49], -v[36:37]
	v_add_f64 v[48:49], v[70:71], -v[82:83]
	;; [unrolled: 1-line block ×9, first 2 shown]
	v_add_f64 v[52:53], v[52:53], v[64:65]
	v_add_f64 v[54:55], v[54:55], v[66:67]
	v_add_f64 v[44:45], v[78:79], -v[74:75]
	v_add_f64 v[72:73], v[40:41], v[36:37]
	v_add_f64 v[76:77], v[40:41], -v[36:37]
	v_add_f64 v[36:37], v[36:37], -v[32:33]
	v_add_f64 v[28:29], v[28:29], v[52:53]
	v_add_f64 v[30:31], v[30:31], v[54:55]
	;; [unrolled: 1-line block ×3, first 2 shown]
	v_add_f64 v[78:79], v[44:45], -v[48:49]
	v_add_f64 v[40:41], v[32:33], -v[40:41]
	;; [unrolled: 1-line block ×3, first 2 shown]
	v_add_f64 v[32:33], v[72:73], v[32:33]
	v_mul_f64 v[34:35], v[34:35], s[6:7]
	v_mul_f64 v[38:39], v[38:39], s[6:7]
	;; [unrolled: 1-line block ×6, first 2 shown]
	v_mov_b64_e32 v[80:81], v[28:29]
	v_mov_b64_e32 v[82:83], v[30:31]
	v_add_f64 v[44:45], v[42:43], -v[44:45]
	v_add_f64 v[42:43], v[74:75], v[42:43]
	v_mul_f64 v[74:75], v[78:79], s[12:13]
	v_mul_f64 v[78:79], v[48:49], s[2:3]
	v_fmac_f64_e32 v[80:81], s[10:11], v[52:53]
	v_fmac_f64_e32 v[82:83], s[10:11], v[54:55]
	v_fma_f64 v[52:53], v[68:69], s[14:15], -v[64:65]
	v_fma_f64 v[54:55], v[70:71], s[14:15], -v[66:67]
	;; [unrolled: 1-line block ×3, first 2 shown]
	v_fmac_f64_e32 v[34:35], s[8:9], v[46:47]
	v_fma_f64 v[46:47], v[70:71], s[18:19], -v[38:39]
	v_fmac_f64_e32 v[38:39], s[8:9], v[50:51]
	v_fma_f64 v[50:51], v[36:37], s[2:3], -v[72:73]
	v_fma_f64 v[66:67], v[40:41], s[20:21], -v[76:77]
	;; [unrolled: 1-line block ×3, first 2 shown]
	v_fmac_f64_e32 v[74:75], s[22:23], v[44:45]
	v_fma_f64 v[68:69], v[44:45], s[20:21], -v[78:79]
	v_add_f64 v[44:45], v[52:53], v[80:81]
	v_add_f64 v[52:53], v[54:55], v[82:83]
	;; [unrolled: 1-line block ×4, first 2 shown]
	v_fmac_f64_e32 v[50:51], s[16:17], v[32:33]
	v_fmac_f64_e32 v[66:67], s[16:17], v[32:33]
	v_fmac_f64_e32 v[72:73], s[22:23], v[40:41]
	v_add_f64 v[76:77], v[38:39], v[82:83]
	v_fmac_f64_e32 v[74:75], s[16:17], v[42:43]
	v_fmac_f64_e32 v[48:49], s[16:17], v[42:43]
	;; [unrolled: 1-line block ×3, first 2 shown]
	v_add_f64 v[38:39], v[64:65], -v[66:67]
	v_add_f64 v[42:43], v[50:51], v[52:53]
	v_add_f64 v[46:47], v[52:53], -v[50:51]
	v_add_f64 v[50:51], v[66:67], v[64:65]
	v_mul_u32_u24_e32 v64, 0xee0, v100
	v_add_f64 v[70:71], v[34:35], v[80:81]
	v_fmac_f64_e32 v[72:73], s[16:17], v[32:33]
	v_add3_u32 v62, 0, v64, v62
	v_add_f64 v[32:33], v[74:75], v[70:71]
	v_add_f64 v[34:35], v[76:77], -v[72:73]
	v_add_f64 v[36:37], v[68:69], v[54:55]
	v_add_f64 v[40:41], v[44:45], -v[48:49]
	;; [unrolled: 2-line block ×3, first 2 shown]
	v_add_f64 v[52:53], v[70:71], -v[74:75]
	v_add_f64 v[54:55], v[72:73], v[76:77]
	ds_write_b128 v62, v[28:31]
	ds_write_b128 v62, v[32:35] offset:544
	ds_write_b128 v62, v[36:39] offset:1088
	;; [unrolled: 1-line block ×6, first 2 shown]
	s_and_saveexec_b64 s[24:25], vcc
	s_cbranch_execz .LBB0_17
; %bb.16:
	v_lshrrev_b16_e32 v59, 13, v59
	v_mul_lo_u16_e32 v28, 34, v59
	v_sub_u16_e32 v57, v57, v28
	v_mul_u32_u24_sdwa v28, v57, v63 dst_sel:DWORD dst_unused:UNUSED_PAD src0_sel:BYTE_0 src1_sel:DWORD
	v_lshlrev_b32_e32 v52, 4, v28
	global_load_dwordx4 v[28:31], v52, s[4:5] offset:320
	global_load_dwordx4 v[32:35], v52, s[4:5] offset:304
	;; [unrolled: 1-line block ×6, first 2 shown]
	s_waitcnt vmcnt(5)
	v_mul_f64 v[52:53], v[18:19], v[30:31]
	s_waitcnt vmcnt(4)
	v_mul_f64 v[54:55], v[14:15], v[34:35]
	;; [unrolled: 2-line block ×6, first 2 shown]
	v_mul_f64 v[34:35], v[12:13], v[34:35]
	v_mul_f64 v[38:39], v[24:25], v[38:39]
	;; [unrolled: 1-line block ×5, first 2 shown]
	v_fma_f64 v[24:25], v[24:25], v[36:37], -v[62:63]
	v_fma_f64 v[4:5], v[4:5], v[40:41], -v[64:65]
	;; [unrolled: 1-line block ×4, first 2 shown]
	v_mul_f64 v[30:31], v[16:17], v[30:31]
	v_fma_f64 v[16:17], v[16:17], v[28:29], -v[52:53]
	v_fma_f64 v[12:13], v[12:13], v[32:33], -v[54:55]
	v_fmac_f64_e32 v[34:35], v[14:15], v[32:33]
	v_fmac_f64_e32 v[38:39], v[26:27], v[36:37]
	;; [unrolled: 1-line block ×3, first 2 shown]
	v_add_f64 v[6:7], v[24:25], -v[4:5]
	v_add_f64 v[14:15], v[20:21], -v[0:1]
	v_add_f64 v[4:5], v[24:25], v[4:5]
	v_add_f64 v[0:1], v[20:21], v[0:1]
	v_fmac_f64_e32 v[30:31], v[18:19], v[28:29]
	v_fmac_f64_e32 v[46:47], v[22:23], v[44:45]
	;; [unrolled: 1-line block ×3, first 2 shown]
	v_add_f64 v[2:3], v[16:17], -v[12:13]
	v_add_f64 v[22:23], v[38:39], v[42:43]
	v_add_f64 v[12:13], v[12:13], v[16:17]
	v_add_f64 v[20:21], v[38:39], -v[42:43]
	v_add_f64 v[42:43], v[4:5], v[0:1]
	v_add_f64 v[18:19], v[34:35], v[30:31]
	;; [unrolled: 1-line block ×3, first 2 shown]
	v_add_f64 v[16:17], v[30:31], -v[34:35]
	v_add_f64 v[28:29], v[2:3], v[6:7]
	v_add_f64 v[30:31], v[2:3], -v[6:7]
	v_add_f64 v[38:39], v[12:13], -v[4:5]
	;; [unrolled: 1-line block ×4, first 2 shown]
	v_add_f64 v[12:13], v[12:13], v[42:43]
	v_add_f64 v[24:25], v[46:47], -v[50:51]
	v_add_f64 v[32:33], v[14:15], -v[2:3]
	;; [unrolled: 1-line block ×4, first 2 shown]
	v_add_f64 v[36:37], v[22:23], v[26:27]
	v_add_f64 v[44:45], v[16:17], v[20:21]
	v_add_f64 v[22:23], v[22:23], -v[26:27]
	v_add_f64 v[26:27], v[4:5], -v[0:1]
	v_add_f64 v[14:15], v[28:29], v[14:15]
	v_mul_f64 v[28:29], v[30:31], s[12:13]
	v_mul_f64 v[42:43], v[48:49], s[2:3]
	v_add_f64 v[0:1], v[8:9], v[12:13]
	v_mul_f64 v[4:5], v[34:35], s[6:7]
	v_add_f64 v[6:7], v[18:19], v[36:37]
	;; [unrolled: 2-line block ×3, first 2 shown]
	v_fma_f64 v[44:45], s[22:23], v[32:33], v[28:29]
	v_fma_f64 v[32:33], v[32:33], s[20:21], -v[42:43]
	v_mov_b64_e32 v[42:43], v[0:1]
	v_add_f64 v[46:47], v[16:17], -v[20:21]
	v_fma_f64 v[8:9], v[26:27], s[18:19], -v[34:35]
	v_fmac_f64_e32 v[42:43], s[10:11], v[12:13]
	v_add_f64 v[12:13], v[20:21], -v[24:25]
	v_add_f64 v[16:17], v[24:25], -v[16:17]
	v_mul_f64 v[30:31], v[2:3], s[8:9]
	v_mul_f64 v[40:41], v[46:47], s[12:13]
	v_fma_f64 v[46:47], s[8:9], v[2:3], v[4:5]
	v_add_f64 v[2:3], v[10:11], v[6:7]
	v_add_f64 v[54:55], v[8:9], v[42:43]
	v_mul_f64 v[8:9], v[12:13], s[2:3]
	v_mul_f64 v[18:19], v[38:39], s[8:9]
	v_fma_f64 v[10:11], s[8:9], v[38:39], v[34:35]
	v_fma_f64 v[38:39], s[22:23], v[16:17], v[40:41]
	v_fma_f64 v[4:5], v[22:23], s[18:19], -v[4:5]
	v_mov_b64_e32 v[34:35], v[2:3]
	v_fma_f64 v[20:21], v[16:17], s[20:21], -v[8:9]
	v_fma_f64 v[16:17], v[22:23], s[14:15], -v[30:31]
	;; [unrolled: 1-line block ×3, first 2 shown]
	v_mov_b32_e32 v29, 4
	v_fmac_f64_e32 v[34:35], s[10:11], v[6:7]
	v_fma_f64 v[24:25], v[12:13], s[2:3], -v[40:41]
	v_fma_f64 v[12:13], v[26:27], s[14:15], -v[18:19]
	v_mul_u32_u24_e32 v28, 0xee0, v59
	v_lshlrev_b32_sdwa v29, v29, v57 dst_sel:DWORD dst_unused:UNUSED_PAD src0_sel:DWORD src1_sel:BYTE_0
	v_fmac_f64_e32 v[44:45], s[16:17], v[14:15]
	v_fmac_f64_e32 v[38:39], s[16:17], v[36:37]
	;; [unrolled: 1-line block ×3, first 2 shown]
	v_add_f64 v[46:47], v[46:47], v[34:35]
	v_add_f64 v[50:51], v[10:11], v[42:43]
	;; [unrolled: 1-line block ×3, first 2 shown]
	v_fmac_f64_e32 v[20:21], s[16:17], v[36:37]
	v_add_f64 v[16:17], v[16:17], v[34:35]
	v_fmac_f64_e32 v[22:23], s[16:17], v[14:15]
	v_fmac_f64_e32 v[24:25], s[16:17], v[36:37]
	v_add_f64 v[26:27], v[12:13], v[42:43]
	v_add3_u32 v28, 0, v28, v29
	v_add_f64 v[6:7], v[44:45], v[46:47]
	v_add_f64 v[4:5], v[50:51], -v[38:39]
	v_add_f64 v[10:11], v[32:33], v[52:53]
	v_add_f64 v[8:9], v[54:55], -v[20:21]
	v_add_f64 v[14:15], v[16:17], -v[22:23]
	v_add_f64 v[12:13], v[24:25], v[26:27]
	v_add_f64 v[18:19], v[22:23], v[16:17]
	v_add_f64 v[16:17], v[26:27], -v[24:25]
	v_add_f64 v[22:23], v[52:53], -v[32:33]
	v_add_f64 v[20:21], v[20:21], v[54:55]
	v_add_f64 v[26:27], v[46:47], -v[44:45]
	v_add_f64 v[24:25], v[38:39], v[50:51]
	ds_write_b128 v28, v[0:3]
	ds_write_b128 v28, v[24:27] offset:544
	ds_write_b128 v28, v[20:23] offset:1088
	ds_write_b128 v28, v[16:19] offset:1632
	ds_write_b128 v28, v[12:15] offset:2176
	ds_write_b128 v28, v[8:11] offset:2720
	ds_write_b128 v28, v[4:7] offset:3264
.LBB0_17:
	s_or_b64 exec, exec, s[24:25]
	v_mul_u32_u24_e32 v0, 5, v122
	v_lshlrev_b32_e32 v2, 4, v0
	s_waitcnt lgkmcnt(0)
	s_barrier
	global_load_dwordx4 v[4:7], v2, s[4:5] offset:3536
	global_load_dwordx4 v[8:11], v2, s[4:5] offset:3552
	;; [unrolled: 1-line block ×5, first 2 shown]
	v_mov_b32_e32 v3, 0
	s_mov_b64 s[2:3], 0x2530
	v_lshl_add_u64 v[0:1], s[4:5], 0, v[2:3]
	v_lshl_add_u64 v[0:1], v[0:1], 0, s[2:3]
	global_load_dwordx4 v[24:27], v[0:1], off offset:3536
	global_load_dwordx4 v[28:31], v[0:1], off offset:3552
	;; [unrolled: 1-line block ×5, first 2 shown]
	ds_read_b128 v[44:47], v60
	ds_read_b128 v[48:51], v232
	ds_read_b128 v[52:55], v232 offset:1904
	ds_read_b128 v[62:65], v232 offset:3808
	;; [unrolled: 1-line block ×10, first 2 shown]
	s_mov_b32 s6, 0xe8584caa
	s_mov_b32 s7, 0x3febb67a
	;; [unrolled: 1-line block ×4, first 2 shown]
	s_waitcnt lgkmcnt(0)
	s_barrier
	v_cmp_ne_u32_e32 vcc, 0, v122
	s_waitcnt vmcnt(9)
	v_mul_f64 v[0:1], v[64:65], v[6:7]
	v_mul_f64 v[98:99], v[62:63], v[6:7]
	s_waitcnt vmcnt(8)
	v_mul_f64 v[6:7], v[46:47], v[10:11]
	v_mul_f64 v[10:11], v[44:45], v[10:11]
	;; [unrolled: 3-line block ×3, first 2 shown]
	v_mul_f64 v[100:101], v[72:73], v[14:15]
	v_mul_f64 v[14:15], v[70:71], v[14:15]
	v_fmac_f64_e32 v[10:11], v[46:47], v[8:9]
	v_fmac_f64_e32 v[18:19], v[80:81], v[16:17]
	s_waitcnt vmcnt(5)
	v_mul_f64 v[104:105], v[88:89], v[22:23]
	v_mul_f64 v[22:23], v[86:87], v[22:23]
	v_fma_f64 v[0:1], v[62:63], v[4:5], -v[0:1]
	v_fmac_f64_e32 v[98:99], v[64:65], v[4:5]
	v_fma_f64 v[4:5], v[44:45], v[8:9], -v[6:7]
	v_fmac_f64_e32 v[14:15], v[72:73], v[12:13]
	v_fma_f64 v[8:9], v[78:79], v[16:17], -v[102:103]
	v_add_f64 v[72:73], v[10:11], -v[18:19]
	v_add_f64 v[78:79], v[50:51], v[10:11]
	v_add_f64 v[10:11], v[10:11], v[18:19]
	v_fma_f64 v[6:7], v[70:71], v[12:13], -v[100:101]
	v_fma_f64 v[12:13], v[86:87], v[20:21], -v[104:105]
	v_fmac_f64_e32 v[22:23], v[88:89], v[20:21]
	s_waitcnt vmcnt(4)
	v_mul_f64 v[16:17], v[68:69], v[26:27]
	v_mul_f64 v[44:45], v[66:67], v[26:27]
	s_waitcnt vmcnt(3)
	v_mul_f64 v[20:21], v[76:77], v[30:31]
	v_mul_f64 v[30:31], v[74:75], v[30:31]
	s_waitcnt vmcnt(2)
	v_mul_f64 v[26:27], v[84:85], v[34:35]
	v_add_f64 v[64:65], v[48:49], v[4:5]
	v_add_f64 v[70:71], v[4:5], v[8:9]
	v_fmac_f64_e32 v[50:51], -0.5, v[10:11]
	v_add_f64 v[4:5], v[4:5], -v[8:9]
	v_fmac_f64_e32 v[44:45], v[68:69], v[24:25]
	v_fma_f64 v[68:69], v[74:75], v[28:29], -v[20:21]
	v_fmac_f64_e32 v[30:31], v[76:77], v[28:29]
	v_fma_f64 v[28:29], v[82:83], v[32:33], -v[26:27]
	v_fma_f64 v[26:27], s[2:3], v[4:5], v[50:51]
	v_fmac_f64_e32 v[50:51], s[6:7], v[4:5]
	v_add_f64 v[4:5], v[0:1], v[6:7]
	v_fma_f64 v[66:67], v[66:67], v[24:25], -v[16:17]
	v_add_f64 v[24:25], v[4:5], v[12:13]
	v_add_f64 v[4:5], v[6:7], v[12:13]
	v_fmac_f64_e32 v[0:1], -0.5, v[4:5]
	v_add_f64 v[4:5], v[14:15], -v[22:23]
	v_mul_f64 v[34:35], v[82:83], v[34:35]
	s_waitcnt vmcnt(1)
	v_mul_f64 v[46:47], v[92:93], v[38:39]
	v_mul_f64 v[38:39], v[90:91], v[38:39]
	s_waitcnt vmcnt(0)
	v_mul_f64 v[62:63], v[96:97], v[42:43]
	v_mul_f64 v[42:43], v[94:95], v[42:43]
	v_fma_f64 v[10:11], s[6:7], v[4:5], v[0:1]
	v_fmac_f64_e32 v[0:1], s[2:3], v[4:5]
	v_add_f64 v[4:5], v[98:99], v[14:15]
	v_fmac_f64_e32 v[34:35], v[84:85], v[32:33]
	v_fma_f64 v[32:33], v[90:91], v[36:37], -v[46:47]
	v_fmac_f64_e32 v[38:39], v[92:93], v[36:37]
	v_fma_f64 v[36:37], v[94:95], v[40:41], -v[62:63]
	v_fmac_f64_e32 v[42:43], v[96:97], v[40:41]
	v_add_f64 v[40:41], v[4:5], v[22:23]
	v_add_f64 v[4:5], v[14:15], v[22:23]
	v_fmac_f64_e32 v[98:99], -0.5, v[4:5]
	v_add_f64 v[4:5], v[6:7], -v[12:13]
	v_add_f64 v[18:19], v[78:79], v[18:19]
	v_fma_f64 v[14:15], s[2:3], v[4:5], v[98:99]
	v_fmac_f64_e32 v[98:99], s[6:7], v[4:5]
	v_add_f64 v[16:17], v[64:65], v[8:9]
	v_fmac_f64_e32 v[48:49], -0.5, v[70:71]
	v_mul_f64 v[46:47], v[0:1], -0.5
	v_add_f64 v[6:7], v[18:19], v[40:41]
	v_mul_f64 v[64:65], v[98:99], -0.5
	v_add_f64 v[18:19], v[18:19], -v[40:41]
	v_add_f64 v[40:41], v[68:69], v[32:33]
	v_fma_f64 v[20:21], s[6:7], v[72:73], v[48:49]
	v_fmac_f64_e32 v[48:49], s[2:3], v[72:73]
	v_fmac_f64_e32 v[46:47], s[6:7], v[98:99]
	;; [unrolled: 1-line block ×3, first 2 shown]
	v_add_f64 v[0:1], v[52:53], v[68:69]
	v_fmac_f64_e32 v[52:53], -0.5, v[40:41]
	v_add_f64 v[40:41], v[30:31], -v[38:39]
	v_add_f64 v[4:5], v[16:17], v[24:25]
	v_mul_f64 v[22:23], v[14:15], s[6:7]
	v_add_f64 v[12:13], v[48:49], v[46:47]
	v_mul_f64 v[62:63], v[10:11], s[2:3]
	v_add_f64 v[16:17], v[16:17], -v[24:25]
	v_add_f64 v[24:25], v[48:49], -v[46:47]
	v_fma_f64 v[46:47], s[6:7], v[40:41], v[52:53]
	v_fmac_f64_e32 v[52:53], s[2:3], v[40:41]
	v_add_f64 v[40:41], v[54:55], v[30:31]
	v_add_f64 v[30:31], v[30:31], v[38:39]
	v_fmac_f64_e32 v[22:23], 0.5, v[10:11]
	v_fmac_f64_e32 v[62:63], 0.5, v[14:15]
	v_fmac_f64_e32 v[54:55], -0.5, v[30:31]
	v_add_f64 v[30:31], v[68:69], -v[32:33]
	v_add_f64 v[8:9], v[20:21], v[22:23]
	v_add_f64 v[10:11], v[26:27], v[62:63]
	v_add_f64 v[20:21], v[20:21], -v[22:23]
	v_add_f64 v[22:23], v[26:27], -v[62:63]
	v_fma_f64 v[62:63], s[2:3], v[30:31], v[54:55]
	v_fmac_f64_e32 v[54:55], s[6:7], v[30:31]
	v_add_f64 v[30:31], v[66:67], v[28:29]
	v_add_f64 v[14:15], v[50:51], v[64:65]
	v_add_f64 v[26:27], v[50:51], -v[64:65]
	v_add_f64 v[50:51], v[40:41], v[38:39]
	v_add_f64 v[40:41], v[30:31], v[36:37]
	;; [unrolled: 1-line block ×3, first 2 shown]
	v_fmac_f64_e32 v[66:67], -0.5, v[30:31]
	v_add_f64 v[30:31], v[34:35], -v[42:43]
	v_fma_f64 v[38:39], s[6:7], v[30:31], v[66:67]
	v_fmac_f64_e32 v[66:67], s[2:3], v[30:31]
	v_add_f64 v[30:31], v[44:45], v[34:35]
	v_add_f64 v[64:65], v[30:31], v[42:43]
	;; [unrolled: 1-line block ×3, first 2 shown]
	v_fmac_f64_e32 v[44:45], -0.5, v[30:31]
	v_add_f64 v[28:29], v[28:29], -v[36:37]
	v_fma_f64 v[34:35], s[2:3], v[28:29], v[44:45]
	v_fmac_f64_e32 v[44:45], s[6:7], v[28:29]
	v_mul_f64 v[42:43], v[34:35], s[6:7]
	v_mul_f64 v[48:49], v[66:67], -0.5
	v_mul_f64 v[68:69], v[38:39], s[2:3]
	v_mul_f64 v[70:71], v[44:45], -0.5
	v_add_f64 v[0:1], v[0:1], v[32:33]
	v_fmac_f64_e32 v[42:43], 0.5, v[38:39]
	v_fmac_f64_e32 v[48:49], s[6:7], v[44:45]
	v_fmac_f64_e32 v[68:69], 0.5, v[34:35]
	v_fmac_f64_e32 v[70:71], s[2:3], v[66:67]
	v_add_f64 v[28:29], v[0:1], v[40:41]
	v_add_f64 v[32:33], v[46:47], v[42:43]
	;; [unrolled: 1-line block ×6, first 2 shown]
	v_add_f64 v[40:41], v[0:1], -v[40:41]
	v_add_f64 v[44:45], v[46:47], -v[42:43]
	;; [unrolled: 1-line block ×6, first 2 shown]
	ds_write_b128 v232, v[4:7]
	ds_write_b128 v232, v[8:11] offset:3808
	ds_write_b128 v232, v[12:15] offset:7616
	;; [unrolled: 1-line block ×11, first 2 shown]
	s_waitcnt lgkmcnt(0)
	s_barrier
	ds_read_b128 v[4:7], v232
	s_add_u32 s2, s4, 0x5830
	v_lshlrev_b32_e32 v0, 4, v122
	s_addc_u32 s3, s5, 0
	v_sub_u32_e32 v14, 0, v0
                                        ; implicit-def: $vgpr0_vgpr1
                                        ; implicit-def: $vgpr10_vgpr11
                                        ; implicit-def: $vgpr12_vgpr13
                                        ; implicit-def: $vgpr8_vgpr9
	s_and_saveexec_b64 s[4:5], vcc
	s_xor_b64 s[4:5], exec, s[4:5]
	s_cbranch_execz .LBB0_19
; %bb.18:
	v_mov_b32_e32 v123, v3
	v_lshl_add_u64 v[0:1], v[122:123], 4, s[2:3]
	global_load_dwordx4 v[0:3], v[0:1], off
	ds_read_b128 v[8:11], v14 offset:22848
	s_waitcnt lgkmcnt(0)
	v_add_f64 v[16:17], v[4:5], v[8:9]
	v_add_f64 v[4:5], v[4:5], -v[8:9]
	v_add_f64 v[12:13], v[6:7], v[10:11]
	v_add_f64 v[6:7], v[6:7], -v[10:11]
	v_mul_f64 v[4:5], v[4:5], 0.5
	v_mul_f64 v[8:9], v[12:13], 0.5
	;; [unrolled: 1-line block ×3, first 2 shown]
	s_waitcnt vmcnt(0)
	v_mul_f64 v[18:19], v[4:5], v[2:3]
	v_fma_f64 v[12:13], v[8:9], v[2:3], v[6:7]
	v_fma_f64 v[2:3], v[8:9], v[2:3], -v[6:7]
	v_fma_f64 v[10:11], 0.5, v[16:17], v[18:19]
	v_fma_f64 v[6:7], v[16:17], 0.5, -v[18:19]
	v_fma_f64 v[12:13], -v[0:1], v[4:5], v[12:13]
	v_fma_f64 v[2:3], -v[0:1], v[4:5], v[2:3]
	v_fmac_f64_e32 v[10:11], v[8:9], v[0:1]
	v_fma_f64 v[0:1], -v[8:9], v[0:1], v[6:7]
	v_mov_b64_e32 v[8:9], v[122:123]
                                        ; implicit-def: $vgpr4_vgpr5
.LBB0_19:
	s_andn2_saveexec_b64 s[4:5], s[4:5]
	s_cbranch_execz .LBB0_21
; %bb.20:
	v_mov_b32_e32 v15, 0
	ds_read_b64 v[2:3], v15 offset:11432
	v_mov_b64_e32 v[12:13], 0
	s_waitcnt lgkmcnt(1)
	v_add_f64 v[10:11], v[4:5], v[6:7]
	v_add_f64 v[0:1], v[4:5], -v[6:7]
	v_mov_b64_e32 v[8:9], 0
	s_waitcnt lgkmcnt(0)
	v_xor_b32_e32 v3, 0x80000000, v3
	ds_write_b64 v15, v[2:3] offset:11432
	v_mov_b64_e32 v[2:3], v[12:13]
.LBB0_21:
	s_or_b64 exec, exec, s[4:5]
	v_lshl_add_u64 v[28:29], v[8:9], 4, s[2:3]
	s_waitcnt lgkmcnt(0)
	global_load_dwordx4 v[4:7], v[28:29], off offset:1904
	global_load_dwordx4 v[16:19], v[28:29], off offset:3808
	v_mov_b32_e32 v59, 0
	v_lshl_add_u64 v[20:21], v[58:59], 4, s[2:3]
	global_load_dwordx4 v[20:23], v[20:21], off
	v_mov_b32_e32 v57, v59
	ds_write2_b64 v232, v[10:11], v[12:13] offset1:1
	ds_write_b128 v14, v[0:3] offset:22848
	v_lshl_add_u64 v[24:25], v[56:57], 4, s[2:3]
	ds_read_b128 v[0:3], v232 offset:1904
	ds_read_b128 v[10:13], v14 offset:20944
	global_load_dwordx4 v[24:27], v[24:25], off
	s_movk_i32 s4, 0x2000
	v_add_u32_e32 v15, 0x800, v232
	s_waitcnt lgkmcnt(0)
	v_add_f64 v[30:31], v[0:1], v[10:11]
	v_add_f64 v[0:1], v[0:1], -v[10:11]
	v_add_f64 v[32:33], v[2:3], v[12:13]
	v_add_f64 v[2:3], v[2:3], -v[12:13]
	v_mul_f64 v[0:1], v[0:1], 0.5
	v_mul_f64 v[10:11], v[32:33], 0.5
	;; [unrolled: 1-line block ×3, first 2 shown]
	s_waitcnt vmcnt(3)
	v_mul_f64 v[12:13], v[0:1], v[6:7]
	v_fma_f64 v[32:33], v[10:11], v[6:7], v[2:3]
	v_fma_f64 v[2:3], v[10:11], v[6:7], -v[2:3]
	v_fma_f64 v[6:7], 0.5, v[30:31], v[12:13]
	v_fma_f64 v[12:13], v[30:31], 0.5, -v[12:13]
	v_fma_f64 v[32:33], -v[4:5], v[0:1], v[32:33]
	v_fma_f64 v[2:3], -v[4:5], v[0:1], v[2:3]
	v_fmac_f64_e32 v[6:7], v[10:11], v[4:5]
	v_fma_f64 v[0:1], -v[10:11], v[4:5], v[12:13]
	v_add_co_u32_e32 v10, vcc, s4, v28
	ds_write2_b64 v232, v[6:7], v[32:33] offset0:238 offset1:239
	ds_write_b128 v14, v[0:3] offset:20944
	v_addc_co_u32_e32 v11, vcc, 0, v29, vcc
	ds_read_b128 v[0:3], v232 offset:3808
	ds_read_b128 v[4:7], v14 offset:19040
	global_load_dwordx4 v[10:13], v[10:11], off offset:1328
	s_waitcnt lgkmcnt(0)
	v_add_f64 v[28:29], v[0:1], v[4:5]
	v_add_f64 v[0:1], v[0:1], -v[4:5]
	v_add_f64 v[30:31], v[2:3], v[6:7]
	v_add_f64 v[2:3], v[2:3], -v[6:7]
	v_mul_f64 v[0:1], v[0:1], 0.5
	v_mul_f64 v[4:5], v[30:31], 0.5
	;; [unrolled: 1-line block ×3, first 2 shown]
	s_waitcnt vmcnt(3)
	v_mul_f64 v[6:7], v[0:1], v[18:19]
	v_fma_f64 v[30:31], v[4:5], v[18:19], v[2:3]
	v_fma_f64 v[2:3], v[4:5], v[18:19], -v[2:3]
	v_fma_f64 v[18:19], 0.5, v[28:29], v[6:7]
	v_fma_f64 v[30:31], -v[16:17], v[0:1], v[30:31]
	v_fma_f64 v[6:7], v[28:29], 0.5, -v[6:7]
	v_fmac_f64_e32 v[18:19], v[4:5], v[16:17]
	v_fma_f64 v[2:3], -v[16:17], v[0:1], v[2:3]
	v_fma_f64 v[0:1], -v[4:5], v[16:17], v[6:7]
	ds_write2_b64 v15, v[18:19], v[30:31] offset0:220 offset1:221
	ds_write_b128 v14, v[0:3] offset:19040
	ds_read_b128 v[0:3], v61
	ds_read_b128 v[4:7], v14 offset:17136
	v_add_u32_e32 v15, 0x2000, v232
	s_waitcnt lgkmcnt(0)
	v_add_f64 v[16:17], v[0:1], v[4:5]
	v_add_f64 v[0:1], v[0:1], -v[4:5]
	v_add_f64 v[18:19], v[2:3], v[6:7]
	v_add_f64 v[2:3], v[2:3], -v[6:7]
	v_mul_f64 v[0:1], v[0:1], 0.5
	v_mul_f64 v[4:5], v[18:19], 0.5
	;; [unrolled: 1-line block ×3, first 2 shown]
	s_waitcnt vmcnt(2)
	v_mul_f64 v[6:7], v[0:1], v[22:23]
	v_fma_f64 v[18:19], v[4:5], v[22:23], v[2:3]
	v_fma_f64 v[2:3], v[4:5], v[22:23], -v[2:3]
	v_fma_f64 v[22:23], 0.5, v[16:17], v[6:7]
	v_fma_f64 v[18:19], -v[20:21], v[0:1], v[18:19]
	v_fma_f64 v[6:7], v[16:17], 0.5, -v[6:7]
	v_fmac_f64_e32 v[22:23], v[4:5], v[20:21]
	v_fma_f64 v[2:3], -v[20:21], v[0:1], v[2:3]
	v_fma_f64 v[0:1], -v[4:5], v[20:21], v[6:7]
	ds_write2_b64 v61, v[22:23], v[18:19] offset1:1
	ds_write_b128 v14, v[0:3] offset:17136
	ds_read_b128 v[0:3], v60
	ds_read_b128 v[4:7], v14 offset:15232
	s_waitcnt lgkmcnt(0)
	v_add_f64 v[16:17], v[0:1], v[4:5]
	v_add_f64 v[0:1], v[0:1], -v[4:5]
	v_add_f64 v[18:19], v[2:3], v[6:7]
	v_add_f64 v[2:3], v[2:3], -v[6:7]
	v_mul_f64 v[0:1], v[0:1], 0.5
	v_mul_f64 v[4:5], v[18:19], 0.5
	;; [unrolled: 1-line block ×3, first 2 shown]
	s_waitcnt vmcnt(1)
	v_mul_f64 v[6:7], v[0:1], v[26:27]
	v_fma_f64 v[18:19], v[4:5], v[26:27], v[2:3]
	v_fma_f64 v[20:21], 0.5, v[16:17], v[6:7]
	v_fma_f64 v[2:3], v[4:5], v[26:27], -v[2:3]
	v_fma_f64 v[18:19], -v[24:25], v[0:1], v[18:19]
	v_fma_f64 v[6:7], v[16:17], 0.5, -v[6:7]
	v_fmac_f64_e32 v[20:21], v[4:5], v[24:25]
	v_fma_f64 v[2:3], -v[24:25], v[0:1], v[2:3]
	v_fma_f64 v[0:1], -v[4:5], v[24:25], v[6:7]
	ds_write2_b64 v60, v[20:21], v[18:19] offset1:1
	ds_write_b128 v14, v[0:3] offset:15232
	ds_read_b128 v[0:3], v232 offset:9520
	ds_read_b128 v[4:7], v14 offset:13328
	s_waitcnt lgkmcnt(0)
	v_add_f64 v[16:17], v[0:1], v[4:5]
	v_add_f64 v[0:1], v[0:1], -v[4:5]
	v_add_f64 v[18:19], v[2:3], v[6:7]
	v_add_f64 v[2:3], v[2:3], -v[6:7]
	v_mul_f64 v[0:1], v[0:1], 0.5
	v_mul_f64 v[4:5], v[18:19], 0.5
	;; [unrolled: 1-line block ×3, first 2 shown]
	s_waitcnt vmcnt(0)
	v_mul_f64 v[6:7], v[0:1], v[12:13]
	v_fma_f64 v[18:19], v[4:5], v[12:13], v[2:3]
	v_fma_f64 v[2:3], v[4:5], v[12:13], -v[2:3]
	v_fma_f64 v[12:13], 0.5, v[16:17], v[6:7]
	v_fma_f64 v[18:19], -v[10:11], v[0:1], v[18:19]
	v_fma_f64 v[6:7], v[16:17], 0.5, -v[6:7]
	v_fmac_f64_e32 v[12:13], v[4:5], v[10:11]
	v_fma_f64 v[2:3], -v[10:11], v[0:1], v[2:3]
	v_fma_f64 v[0:1], -v[4:5], v[10:11], v[6:7]
	ds_write2_b64 v15, v[12:13], v[18:19] offset0:166 offset1:167
	ds_write_b128 v14, v[0:3] offset:13328
	s_waitcnt lgkmcnt(0)
	s_barrier
	s_and_saveexec_b64 s[2:3], s[0:1]
	s_cbranch_execz .LBB0_24
; %bb.22:
	ds_read_b128 v[0:3], v232
	ds_read_b128 v[4:7], v232 offset:1904
	ds_read_b128 v[10:13], v232 offset:3808
	v_lshl_add_u64 v[8:9], v[8:9], 4, v[120:121]
	s_movk_i32 s0, 0x76
	s_waitcnt lgkmcnt(2)
	global_store_dwordx4 v[8:9], v[0:3], off
	s_waitcnt lgkmcnt(1)
	global_store_dwordx4 v[8:9], v[4:7], off offset:1904
	ds_read_b128 v[0:3], v232 offset:5712
	ds_read_b128 v[4:7], v232 offset:7616
	s_waitcnt lgkmcnt(2)
	global_store_dwordx4 v[8:9], v[10:13], off offset:3808
	s_nop 1
	v_add_co_u32_e32 v10, vcc, 0x1000, v8
	s_nop 1
	v_addc_co_u32_e32 v11, vcc, 0, v9, vcc
	s_waitcnt lgkmcnt(1)
	global_store_dwordx4 v[10:11], v[0:3], off offset:1616
	ds_read_b128 v[0:3], v232 offset:9520
	s_waitcnt lgkmcnt(1)
	global_store_dwordx4 v[10:11], v[4:7], off offset:3520
	ds_read_b128 v[4:7], v232 offset:11424
	v_add_co_u32_e32 v10, vcc, s4, v8
	s_nop 1
	v_addc_co_u32_e32 v11, vcc, 0, v9, vcc
	s_waitcnt lgkmcnt(1)
	global_store_dwordx4 v[10:11], v[0:3], off offset:1328
	ds_read_b128 v[0:3], v232 offset:13328
	s_waitcnt lgkmcnt(1)
	global_store_dwordx4 v[10:11], v[4:7], off offset:3232
	ds_read_b128 v[4:7], v232 offset:15232
	;; [unrolled: 9-line block ×3, first 2 shown]
	v_add_co_u32_e32 v10, vcc, 0x4000, v8
	s_nop 1
	v_addc_co_u32_e32 v11, vcc, 0, v9, vcc
	s_waitcnt lgkmcnt(1)
	global_store_dwordx4 v[10:11], v[0:3], off offset:752
	ds_read_b128 v[0:3], v232 offset:20944
	s_waitcnt lgkmcnt(1)
	global_store_dwordx4 v[10:11], v[4:7], off offset:2656
	s_nop 1
	v_add_co_u32_e32 v4, vcc, 0x5000, v8
	s_nop 1
	v_addc_co_u32_e32 v5, vcc, 0, v9, vcc
	v_cmp_eq_u32_e32 vcc, s0, v122
	s_waitcnt lgkmcnt(0)
	global_store_dwordx4 v[4:5], v[0:3], off offset:464
	s_and_b64 exec, exec, vcc
	s_cbranch_execz .LBB0_24
; %bb.23:
	v_mov_b32_e32 v0, 0
	ds_read_b128 v[0:3], v0 offset:22848
	v_add_co_u32_e32 v4, vcc, 0x5000, v120
	s_nop 1
	v_addc_co_u32_e32 v5, vcc, 0, v121, vcc
	s_waitcnt lgkmcnt(0)
	global_store_dwordx4 v[4:5], v[0:3], off offset:2368
.LBB0_24:
	s_endpgm
	.section	.rodata,"a",@progbits
	.p2align	6, 0x0
	.amdhsa_kernel fft_rtc_fwd_len1428_factors_17_2_7_6_wgs_119_tpt_119_halfLds_dp_ip_CI_unitstride_sbrr_R2C_dirReg
		.amdhsa_group_segment_fixed_size 0
		.amdhsa_private_segment_fixed_size 0
		.amdhsa_kernarg_size 88
		.amdhsa_user_sgpr_count 2
		.amdhsa_user_sgpr_dispatch_ptr 0
		.amdhsa_user_sgpr_queue_ptr 0
		.amdhsa_user_sgpr_kernarg_segment_ptr 1
		.amdhsa_user_sgpr_dispatch_id 0
		.amdhsa_user_sgpr_kernarg_preload_length 0
		.amdhsa_user_sgpr_kernarg_preload_offset 0
		.amdhsa_user_sgpr_private_segment_size 0
		.amdhsa_uses_dynamic_stack 0
		.amdhsa_enable_private_segment 0
		.amdhsa_system_sgpr_workgroup_id_x 1
		.amdhsa_system_sgpr_workgroup_id_y 0
		.amdhsa_system_sgpr_workgroup_id_z 0
		.amdhsa_system_sgpr_workgroup_info 0
		.amdhsa_system_vgpr_workitem_id 0
		.amdhsa_next_free_vgpr 264
		.amdhsa_next_free_sgpr 56
		.amdhsa_accum_offset 256
		.amdhsa_reserve_vcc 1
		.amdhsa_float_round_mode_32 0
		.amdhsa_float_round_mode_16_64 0
		.amdhsa_float_denorm_mode_32 3
		.amdhsa_float_denorm_mode_16_64 3
		.amdhsa_dx10_clamp 1
		.amdhsa_ieee_mode 1
		.amdhsa_fp16_overflow 0
		.amdhsa_tg_split 0
		.amdhsa_exception_fp_ieee_invalid_op 0
		.amdhsa_exception_fp_denorm_src 0
		.amdhsa_exception_fp_ieee_div_zero 0
		.amdhsa_exception_fp_ieee_overflow 0
		.amdhsa_exception_fp_ieee_underflow 0
		.amdhsa_exception_fp_ieee_inexact 0
		.amdhsa_exception_int_div_zero 0
	.end_amdhsa_kernel
	.text
.Lfunc_end0:
	.size	fft_rtc_fwd_len1428_factors_17_2_7_6_wgs_119_tpt_119_halfLds_dp_ip_CI_unitstride_sbrr_R2C_dirReg, .Lfunc_end0-fft_rtc_fwd_len1428_factors_17_2_7_6_wgs_119_tpt_119_halfLds_dp_ip_CI_unitstride_sbrr_R2C_dirReg
                                        ; -- End function
	.section	.AMDGPU.csdata,"",@progbits
; Kernel info:
; codeLenInByte = 14196
; NumSgprs: 62
; NumVgprs: 256
; NumAgprs: 8
; TotalNumVgprs: 264
; ScratchSize: 0
; MemoryBound: 0
; FloatMode: 240
; IeeeMode: 1
; LDSByteSize: 0 bytes/workgroup (compile time only)
; SGPRBlocks: 7
; VGPRBlocks: 32
; NumSGPRsForWavesPerEU: 62
; NumVGPRsForWavesPerEU: 264
; AccumOffset: 256
; Occupancy: 1
; WaveLimiterHint : 1
; COMPUTE_PGM_RSRC2:SCRATCH_EN: 0
; COMPUTE_PGM_RSRC2:USER_SGPR: 2
; COMPUTE_PGM_RSRC2:TRAP_HANDLER: 0
; COMPUTE_PGM_RSRC2:TGID_X_EN: 1
; COMPUTE_PGM_RSRC2:TGID_Y_EN: 0
; COMPUTE_PGM_RSRC2:TGID_Z_EN: 0
; COMPUTE_PGM_RSRC2:TIDIG_COMP_CNT: 0
; COMPUTE_PGM_RSRC3_GFX90A:ACCUM_OFFSET: 63
; COMPUTE_PGM_RSRC3_GFX90A:TG_SPLIT: 0
	.text
	.p2alignl 6, 3212836864
	.fill 256, 4, 3212836864
	.type	__hip_cuid_33d737a97563bda3,@object ; @__hip_cuid_33d737a97563bda3
	.section	.bss,"aw",@nobits
	.globl	__hip_cuid_33d737a97563bda3
__hip_cuid_33d737a97563bda3:
	.byte	0                               ; 0x0
	.size	__hip_cuid_33d737a97563bda3, 1

	.ident	"AMD clang version 19.0.0git (https://github.com/RadeonOpenCompute/llvm-project roc-6.4.0 25133 c7fe45cf4b819c5991fe208aaa96edf142730f1d)"
	.section	".note.GNU-stack","",@progbits
	.addrsig
	.addrsig_sym __hip_cuid_33d737a97563bda3
	.amdgpu_metadata
---
amdhsa.kernels:
  - .agpr_count:     8
    .args:
      - .actual_access:  read_only
        .address_space:  global
        .offset:         0
        .size:           8
        .value_kind:     global_buffer
      - .offset:         8
        .size:           8
        .value_kind:     by_value
      - .actual_access:  read_only
        .address_space:  global
        .offset:         16
        .size:           8
        .value_kind:     global_buffer
      - .actual_access:  read_only
        .address_space:  global
        .offset:         24
        .size:           8
        .value_kind:     global_buffer
      - .offset:         32
        .size:           8
        .value_kind:     by_value
      - .actual_access:  read_only
        .address_space:  global
        .offset:         40
        .size:           8
        .value_kind:     global_buffer
      - .actual_access:  read_only
        .address_space:  global
        .offset:         48
        .size:           8
        .value_kind:     global_buffer
      - .offset:         56
        .size:           4
        .value_kind:     by_value
      - .actual_access:  read_only
        .address_space:  global
        .offset:         64
        .size:           8
        .value_kind:     global_buffer
      - .actual_access:  read_only
        .address_space:  global
        .offset:         72
        .size:           8
        .value_kind:     global_buffer
      - .address_space:  global
        .offset:         80
        .size:           8
        .value_kind:     global_buffer
    .group_segment_fixed_size: 0
    .kernarg_segment_align: 8
    .kernarg_segment_size: 88
    .language:       OpenCL C
    .language_version:
      - 2
      - 0
    .max_flat_workgroup_size: 119
    .name:           fft_rtc_fwd_len1428_factors_17_2_7_6_wgs_119_tpt_119_halfLds_dp_ip_CI_unitstride_sbrr_R2C_dirReg
    .private_segment_fixed_size: 0
    .sgpr_count:     62
    .sgpr_spill_count: 0
    .symbol:         fft_rtc_fwd_len1428_factors_17_2_7_6_wgs_119_tpt_119_halfLds_dp_ip_CI_unitstride_sbrr_R2C_dirReg.kd
    .uniform_work_group_size: 1
    .uses_dynamic_stack: false
    .vgpr_count:     264
    .vgpr_spill_count: 0
    .wavefront_size: 64
amdhsa.target:   amdgcn-amd-amdhsa--gfx950
amdhsa.version:
  - 1
  - 2
...

	.end_amdgpu_metadata
